;; amdgpu-corpus repo=ROCm/rocFFT kind=compiled arch=gfx1201 opt=O3
	.text
	.amdgcn_target "amdgcn-amd-amdhsa--gfx1201"
	.amdhsa_code_object_version 6
	.protected	fft_rtc_fwd_len1365_factors_13_7_5_3_wgs_182_tpt_91_halfLds_dp_ip_CI_sbrr_dirReg ; -- Begin function fft_rtc_fwd_len1365_factors_13_7_5_3_wgs_182_tpt_91_halfLds_dp_ip_CI_sbrr_dirReg
	.globl	fft_rtc_fwd_len1365_factors_13_7_5_3_wgs_182_tpt_91_halfLds_dp_ip_CI_sbrr_dirReg
	.p2align	8
	.type	fft_rtc_fwd_len1365_factors_13_7_5_3_wgs_182_tpt_91_halfLds_dp_ip_CI_sbrr_dirReg,@function
fft_rtc_fwd_len1365_factors_13_7_5_3_wgs_182_tpt_91_halfLds_dp_ip_CI_sbrr_dirReg: ; @fft_rtc_fwd_len1365_factors_13_7_5_3_wgs_182_tpt_91_halfLds_dp_ip_CI_sbrr_dirReg
; %bb.0:
	s_clause 0x2
	s_load_b64 s[12:13], s[0:1], 0x18
	s_load_b128 s[4:7], s[0:1], 0x0
	s_load_b64 s[10:11], s[0:1], 0x50
	v_mul_u32_u24_e32 v1, 0x2d1, v0
	v_mov_b32_e32 v3, 0
	s_delay_alu instid0(VALU_DEP_2) | instskip(SKIP_2) | instid1(VALU_DEP_4)
	v_lshrrev_b32_e32 v191, 16, v1
	v_mov_b32_e32 v1, 0
	v_mov_b32_e32 v2, 0
	;; [unrolled: 1-line block ×3, first 2 shown]
	s_delay_alu instid0(VALU_DEP_4) | instskip(SKIP_3) | instid1(VALU_DEP_1)
	v_lshl_add_u32 v5, ttmp9, 1, v191
	s_wait_kmcnt 0x0
	s_load_b64 s[8:9], s[12:13], 0x0
	v_cmp_lt_u64_e64 s2, s[6:7], 2
	s_and_b32 vcc_lo, exec_lo, s2
	s_cbranch_vccnz .LBB0_8
; %bb.1:
	s_load_b64 s[2:3], s[0:1], 0x10
	v_mov_b32_e32 v1, 0
	v_mov_b32_e32 v2, 0
	s_add_nc_u64 s[14:15], s[12:13], 8
	s_mov_b64 s[16:17], 1
	s_wait_kmcnt 0x0
	s_add_nc_u64 s[18:19], s[2:3], 8
	s_mov_b32 s3, 0
.LBB0_2:                                ; =>This Inner Loop Header: Depth=1
	s_load_b64 s[20:21], s[18:19], 0x0
                                        ; implicit-def: $vgpr7_vgpr8
	s_mov_b32 s2, exec_lo
	s_wait_kmcnt 0x0
	v_or_b32_e32 v4, s21, v6
	s_delay_alu instid0(VALU_DEP_1)
	v_cmpx_ne_u64_e32 0, v[3:4]
	s_wait_alu 0xfffe
	s_xor_b32 s22, exec_lo, s2
	s_cbranch_execz .LBB0_4
; %bb.3:                                ;   in Loop: Header=BB0_2 Depth=1
	s_cvt_f32_u32 s2, s20
	s_cvt_f32_u32 s23, s21
	s_sub_nc_u64 s[26:27], 0, s[20:21]
	s_wait_alu 0xfffe
	s_delay_alu instid0(SALU_CYCLE_1) | instskip(SKIP_1) | instid1(SALU_CYCLE_2)
	s_fmamk_f32 s2, s23, 0x4f800000, s2
	s_wait_alu 0xfffe
	v_s_rcp_f32 s2, s2
	s_delay_alu instid0(TRANS32_DEP_1) | instskip(SKIP_1) | instid1(SALU_CYCLE_2)
	s_mul_f32 s2, s2, 0x5f7ffffc
	s_wait_alu 0xfffe
	s_mul_f32 s23, s2, 0x2f800000
	s_wait_alu 0xfffe
	s_delay_alu instid0(SALU_CYCLE_2) | instskip(SKIP_1) | instid1(SALU_CYCLE_2)
	s_trunc_f32 s23, s23
	s_wait_alu 0xfffe
	s_fmamk_f32 s2, s23, 0xcf800000, s2
	s_cvt_u32_f32 s25, s23
	s_wait_alu 0xfffe
	s_delay_alu instid0(SALU_CYCLE_1) | instskip(SKIP_1) | instid1(SALU_CYCLE_2)
	s_cvt_u32_f32 s24, s2
	s_wait_alu 0xfffe
	s_mul_u64 s[28:29], s[26:27], s[24:25]
	s_wait_alu 0xfffe
	s_mul_hi_u32 s31, s24, s29
	s_mul_i32 s30, s24, s29
	s_mul_hi_u32 s2, s24, s28
	s_mul_i32 s33, s25, s28
	s_wait_alu 0xfffe
	s_add_nc_u64 s[30:31], s[2:3], s[30:31]
	s_mul_hi_u32 s23, s25, s28
	s_mul_hi_u32 s34, s25, s29
	s_add_co_u32 s2, s30, s33
	s_wait_alu 0xfffe
	s_add_co_ci_u32 s2, s31, s23
	s_mul_i32 s28, s25, s29
	s_add_co_ci_u32 s29, s34, 0
	s_wait_alu 0xfffe
	s_add_nc_u64 s[28:29], s[2:3], s[28:29]
	s_wait_alu 0xfffe
	v_add_co_u32 v4, s2, s24, s28
	s_delay_alu instid0(VALU_DEP_1) | instskip(SKIP_1) | instid1(VALU_DEP_1)
	s_cmp_lg_u32 s2, 0
	s_add_co_ci_u32 s25, s25, s29
	v_readfirstlane_b32 s24, v4
	s_wait_alu 0xfffe
	s_delay_alu instid0(VALU_DEP_1)
	s_mul_u64 s[26:27], s[26:27], s[24:25]
	s_wait_alu 0xfffe
	s_mul_hi_u32 s29, s24, s27
	s_mul_i32 s28, s24, s27
	s_mul_hi_u32 s2, s24, s26
	s_mul_i32 s30, s25, s26
	s_wait_alu 0xfffe
	s_add_nc_u64 s[28:29], s[2:3], s[28:29]
	s_mul_hi_u32 s23, s25, s26
	s_mul_hi_u32 s24, s25, s27
	s_wait_alu 0xfffe
	s_add_co_u32 s2, s28, s30
	s_add_co_ci_u32 s2, s29, s23
	s_mul_i32 s26, s25, s27
	s_add_co_ci_u32 s27, s24, 0
	s_wait_alu 0xfffe
	s_add_nc_u64 s[26:27], s[2:3], s[26:27]
	s_wait_alu 0xfffe
	v_add_co_u32 v4, s2, v4, s26
	s_delay_alu instid0(VALU_DEP_1) | instskip(SKIP_1) | instid1(VALU_DEP_1)
	s_cmp_lg_u32 s2, 0
	s_add_co_ci_u32 s2, s25, s27
	v_mul_hi_u32 v13, v5, v4
	s_wait_alu 0xfffe
	v_mad_co_u64_u32 v[7:8], null, v5, s2, 0
	v_mad_co_u64_u32 v[9:10], null, v6, v4, 0
	;; [unrolled: 1-line block ×3, first 2 shown]
	s_delay_alu instid0(VALU_DEP_3) | instskip(SKIP_1) | instid1(VALU_DEP_4)
	v_add_co_u32 v4, vcc_lo, v13, v7
	s_wait_alu 0xfffd
	v_add_co_ci_u32_e32 v7, vcc_lo, 0, v8, vcc_lo
	s_delay_alu instid0(VALU_DEP_2) | instskip(SKIP_1) | instid1(VALU_DEP_2)
	v_add_co_u32 v4, vcc_lo, v4, v9
	s_wait_alu 0xfffd
	v_add_co_ci_u32_e32 v4, vcc_lo, v7, v10, vcc_lo
	s_wait_alu 0xfffd
	v_add_co_ci_u32_e32 v7, vcc_lo, 0, v12, vcc_lo
	s_delay_alu instid0(VALU_DEP_2) | instskip(SKIP_1) | instid1(VALU_DEP_2)
	v_add_co_u32 v4, vcc_lo, v4, v11
	s_wait_alu 0xfffd
	v_add_co_ci_u32_e32 v9, vcc_lo, 0, v7, vcc_lo
	s_delay_alu instid0(VALU_DEP_2) | instskip(SKIP_1) | instid1(VALU_DEP_3)
	v_mul_lo_u32 v10, s21, v4
	v_mad_co_u64_u32 v[7:8], null, s20, v4, 0
	v_mul_lo_u32 v11, s20, v9
	s_delay_alu instid0(VALU_DEP_2) | instskip(NEXT) | instid1(VALU_DEP_2)
	v_sub_co_u32 v7, vcc_lo, v5, v7
	v_add3_u32 v8, v8, v11, v10
	s_delay_alu instid0(VALU_DEP_1) | instskip(SKIP_1) | instid1(VALU_DEP_1)
	v_sub_nc_u32_e32 v10, v6, v8
	s_wait_alu 0xfffd
	v_subrev_co_ci_u32_e64 v10, s2, s21, v10, vcc_lo
	v_add_co_u32 v11, s2, v4, 2
	s_wait_alu 0xf1ff
	v_add_co_ci_u32_e64 v12, s2, 0, v9, s2
	v_sub_co_u32 v13, s2, v7, s20
	v_sub_co_ci_u32_e32 v8, vcc_lo, v6, v8, vcc_lo
	s_wait_alu 0xf1ff
	v_subrev_co_ci_u32_e64 v10, s2, 0, v10, s2
	s_delay_alu instid0(VALU_DEP_3) | instskip(NEXT) | instid1(VALU_DEP_3)
	v_cmp_le_u32_e32 vcc_lo, s20, v13
	v_cmp_eq_u32_e64 s2, s21, v8
	s_wait_alu 0xfffd
	v_cndmask_b32_e64 v13, 0, -1, vcc_lo
	v_cmp_le_u32_e32 vcc_lo, s21, v10
	s_wait_alu 0xfffd
	v_cndmask_b32_e64 v14, 0, -1, vcc_lo
	v_cmp_le_u32_e32 vcc_lo, s20, v7
	;; [unrolled: 3-line block ×3, first 2 shown]
	s_wait_alu 0xfffd
	v_cndmask_b32_e64 v15, 0, -1, vcc_lo
	v_cmp_eq_u32_e32 vcc_lo, s21, v10
	s_wait_alu 0xf1ff
	s_delay_alu instid0(VALU_DEP_2)
	v_cndmask_b32_e64 v7, v15, v7, s2
	s_wait_alu 0xfffd
	v_cndmask_b32_e32 v10, v14, v13, vcc_lo
	v_add_co_u32 v13, vcc_lo, v4, 1
	s_wait_alu 0xfffd
	v_add_co_ci_u32_e32 v14, vcc_lo, 0, v9, vcc_lo
	s_delay_alu instid0(VALU_DEP_3) | instskip(SKIP_2) | instid1(VALU_DEP_3)
	v_cmp_ne_u32_e32 vcc_lo, 0, v10
	s_wait_alu 0xfffd
	v_cndmask_b32_e32 v10, v13, v11, vcc_lo
	v_cndmask_b32_e32 v8, v14, v12, vcc_lo
	v_cmp_ne_u32_e32 vcc_lo, 0, v7
	s_wait_alu 0xfffd
	s_delay_alu instid0(VALU_DEP_2)
	v_dual_cndmask_b32 v7, v4, v10 :: v_dual_cndmask_b32 v8, v9, v8
.LBB0_4:                                ;   in Loop: Header=BB0_2 Depth=1
	s_wait_alu 0xfffe
	s_and_not1_saveexec_b32 s2, s22
	s_cbranch_execz .LBB0_6
; %bb.5:                                ;   in Loop: Header=BB0_2 Depth=1
	v_cvt_f32_u32_e32 v4, s20
	s_sub_co_i32 s22, 0, s20
	s_delay_alu instid0(VALU_DEP_1) | instskip(NEXT) | instid1(TRANS32_DEP_1)
	v_rcp_iflag_f32_e32 v4, v4
	v_mul_f32_e32 v4, 0x4f7ffffe, v4
	s_delay_alu instid0(VALU_DEP_1) | instskip(SKIP_1) | instid1(VALU_DEP_1)
	v_cvt_u32_f32_e32 v4, v4
	s_wait_alu 0xfffe
	v_mul_lo_u32 v7, s22, v4
	s_delay_alu instid0(VALU_DEP_1) | instskip(NEXT) | instid1(VALU_DEP_1)
	v_mul_hi_u32 v7, v4, v7
	v_add_nc_u32_e32 v4, v4, v7
	s_delay_alu instid0(VALU_DEP_1) | instskip(NEXT) | instid1(VALU_DEP_1)
	v_mul_hi_u32 v4, v5, v4
	v_mul_lo_u32 v7, v4, s20
	v_add_nc_u32_e32 v8, 1, v4
	s_delay_alu instid0(VALU_DEP_2) | instskip(NEXT) | instid1(VALU_DEP_1)
	v_sub_nc_u32_e32 v7, v5, v7
	v_subrev_nc_u32_e32 v9, s20, v7
	v_cmp_le_u32_e32 vcc_lo, s20, v7
	s_wait_alu 0xfffd
	s_delay_alu instid0(VALU_DEP_2) | instskip(NEXT) | instid1(VALU_DEP_1)
	v_dual_cndmask_b32 v7, v7, v9 :: v_dual_cndmask_b32 v4, v4, v8
	v_cmp_le_u32_e32 vcc_lo, s20, v7
	s_delay_alu instid0(VALU_DEP_2) | instskip(SKIP_1) | instid1(VALU_DEP_1)
	v_add_nc_u32_e32 v8, 1, v4
	s_wait_alu 0xfffd
	v_dual_cndmask_b32 v7, v4, v8 :: v_dual_mov_b32 v8, v3
.LBB0_6:                                ;   in Loop: Header=BB0_2 Depth=1
	s_wait_alu 0xfffe
	s_or_b32 exec_lo, exec_lo, s2
	s_load_b64 s[22:23], s[14:15], 0x0
	s_delay_alu instid0(VALU_DEP_1)
	v_mul_lo_u32 v4, v8, s20
	v_mul_lo_u32 v11, v7, s21
	v_mad_co_u64_u32 v[9:10], null, v7, s20, 0
	s_add_nc_u64 s[16:17], s[16:17], 1
	s_add_nc_u64 s[14:15], s[14:15], 8
	s_wait_alu 0xfffe
	v_cmp_ge_u64_e64 s2, s[16:17], s[6:7]
	s_add_nc_u64 s[18:19], s[18:19], 8
	s_delay_alu instid0(VALU_DEP_2) | instskip(NEXT) | instid1(VALU_DEP_3)
	v_add3_u32 v4, v10, v11, v4
	v_sub_co_u32 v5, vcc_lo, v5, v9
	s_wait_alu 0xfffd
	s_delay_alu instid0(VALU_DEP_2) | instskip(SKIP_3) | instid1(VALU_DEP_2)
	v_sub_co_ci_u32_e32 v4, vcc_lo, v6, v4, vcc_lo
	s_and_b32 vcc_lo, exec_lo, s2
	s_wait_kmcnt 0x0
	v_mul_lo_u32 v6, s23, v5
	v_mul_lo_u32 v4, s22, v4
	v_mad_co_u64_u32 v[1:2], null, s22, v5, v[1:2]
	s_delay_alu instid0(VALU_DEP_1)
	v_add3_u32 v2, v6, v2, v4
	s_wait_alu 0xfffe
	s_cbranch_vccnz .LBB0_9
; %bb.7:                                ;   in Loop: Header=BB0_2 Depth=1
	v_dual_mov_b32 v5, v7 :: v_dual_mov_b32 v6, v8
	s_branch .LBB0_2
.LBB0_8:
	v_dual_mov_b32 v8, v6 :: v_dual_mov_b32 v7, v5
.LBB0_9:
	s_lshl_b64 s[2:3], s[6:7], 3
	v_mul_hi_u32 v5, 0x2d02d03, v0
	s_wait_alu 0xfffe
	s_add_nc_u64 s[2:3], s[12:13], s[2:3]
                                        ; implicit-def: $vgpr18_vgpr19
                                        ; implicit-def: $vgpr26_vgpr27
                                        ; implicit-def: $vgpr38_vgpr39
                                        ; implicit-def: $vgpr42_vgpr43
                                        ; implicit-def: $vgpr50_vgpr51
                                        ; implicit-def: $vgpr46_vgpr47
                                        ; implicit-def: $vgpr58_vgpr59
                                        ; implicit-def: $vgpr30_vgpr31
                                        ; implicit-def: $vgpr34_vgpr35
                                        ; implicit-def: $vgpr14_vgpr15
                                        ; implicit-def: $vgpr10_vgpr11
                                        ; implicit-def: $vgpr22_vgpr23
                                        ; implicit-def: $vgpr54_vgpr55
                                        ; implicit-def: $vgpr78_vgpr79
                                        ; implicit-def: $vgpr86_vgpr87
                                        ; implicit-def: $vgpr94_vgpr95
                                        ; implicit-def: $vgpr98_vgpr99
                                        ; implicit-def: $vgpr102_vgpr103
                                        ; implicit-def: $vgpr90_vgpr91
                                        ; implicit-def: $vgpr82_vgpr83
                                        ; implicit-def: $vgpr70_vgpr71
                                        ; implicit-def: $vgpr66_vgpr67
                                        ; implicit-def: $vgpr74_vgpr75
                                        ; implicit-def: $vgpr62_vgpr63
	s_load_b64 s[2:3], s[2:3], 0x0
	s_load_b64 s[0:1], s[0:1], 0x20
	s_wait_kmcnt 0x0
	v_mul_lo_u32 v3, s2, v8
	v_mul_lo_u32 v4, s3, v7
	v_mad_co_u64_u32 v[1:2], null, s2, v7, v[1:2]
	v_cmp_gt_u64_e32 vcc_lo, s[0:1], v[7:8]
                                        ; implicit-def: $vgpr6_vgpr7
	s_delay_alu instid0(VALU_DEP_2) | instskip(SKIP_1) | instid1(VALU_DEP_2)
	v_add3_u32 v2, v4, v2, v3
	v_mul_u32_u24_e32 v3, 0x5b, v5
	v_lshlrev_b64_e32 v[128:129], 4, v[1:2]
	s_delay_alu instid0(VALU_DEP_2)
	v_sub_nc_u32_e32 v190, v0, v3
                                        ; implicit-def: $vgpr2_vgpr3
	s_and_saveexec_b32 s1, vcc_lo
	s_cbranch_execz .LBB0_13
; %bb.10:
	s_delay_alu instid0(VALU_DEP_1) | instskip(SKIP_2) | instid1(VALU_DEP_3)
	v_add_nc_u32_e32 v9, 0x69, v190
	v_mad_co_u64_u32 v[0:1], null, s8, v190, 0
	v_add_co_u32 v18, s0, s10, v128
	v_mad_co_u64_u32 v[2:3], null, s8, v9, 0
	v_add_nc_u32_e32 v12, 0x13b, v190
	s_wait_alu 0xf1ff
	v_add_co_ci_u32_e64 v19, s0, s11, v129, s0
	v_add_nc_u32_e32 v16, 0x41a, v190
	v_add_nc_u32_e32 v20, 0x4ec, v190
	s_mov_b32 s2, exec_lo
	v_mad_co_u64_u32 v[4:5], null, s9, v190, v[1:2]
	v_mov_b32_e32 v1, v3
	v_mad_co_u64_u32 v[7:8], null, s8, v12, 0
	v_add_nc_u32_e32 v11, 0xd2, v190
                                        ; implicit-def: $vgpr32_vgpr33
                                        ; implicit-def: $vgpr28_vgpr29
                                        ; implicit-def: $vgpr56_vgpr57
                                        ; implicit-def: $vgpr44_vgpr45
                                        ; implicit-def: $vgpr48_vgpr49
                                        ; implicit-def: $vgpr40_vgpr41
                                        ; implicit-def: $vgpr36_vgpr37
                                        ; implicit-def: $vgpr24_vgpr25
	v_add_nc_u32_e32 v15, 0x2df, v190
	s_delay_alu instid0(VALU_DEP_4) | instskip(SKIP_1) | instid1(VALU_DEP_4)
	v_mad_co_u64_u32 v[9:10], null, s9, v9, v[1:2]
	v_mov_b32_e32 v1, v4
	v_mad_co_u64_u32 v[5:6], null, s8, v11, 0
	v_add_nc_u32_e32 v17, 0x483, v190
	s_delay_alu instid0(VALU_DEP_2) | instskip(SKIP_1) | instid1(VALU_DEP_2)
	v_dual_mov_b32 v3, v9 :: v_dual_mov_b32 v4, v6
	v_mov_b32_e32 v6, v8
	v_mad_co_u64_u32 v[8:9], null, s9, v11, v[4:5]
	s_delay_alu instid0(VALU_DEP_2) | instskip(SKIP_2) | instid1(VALU_DEP_4)
	v_mad_co_u64_u32 v[9:10], null, s9, v12, v[6:7]
	v_add_nc_u32_e32 v12, 0x20d, v190
	v_lshlrev_b64_e32 v[2:3], 4, v[2:3]
	v_dual_mov_b32 v6, v8 :: v_dual_add_nc_u32 v13, 0x1a4, v190
	v_lshlrev_b64_e32 v[0:1], 4, v[0:1]
	v_mov_b32_e32 v8, v9
	s_delay_alu instid0(VALU_DEP_3) | instskip(NEXT) | instid1(VALU_DEP_3)
	v_mad_co_u64_u32 v[10:11], null, s8, v13, 0
	v_add_co_u32 v0, s0, v18, v0
	s_wait_alu 0xf1ff
	s_delay_alu instid0(VALU_DEP_4)
	v_add_co_ci_u32_e64 v1, s0, v19, v1, s0
	v_add_co_u32 v2, s0, v18, v2
	s_wait_alu 0xf1ff
	v_add_co_ci_u32_e64 v3, s0, v19, v3, s0
	s_clause 0x1
	global_load_b128 v[60:63], v[0:1], off
	global_load_b128 v[72:75], v[2:3], off
	v_mad_co_u64_u32 v[3:4], null, s8, v12, 0
	v_mov_b32_e32 v2, v11
	v_lshlrev_b64_e32 v[0:1], 4, v[5:6]
	v_lshlrev_b64_e32 v[5:6], 4, v[7:8]
	s_delay_alu instid0(VALU_DEP_3) | instskip(NEXT) | instid1(VALU_DEP_3)
	v_mad_co_u64_u32 v[7:8], null, s9, v13, v[2:3]
	v_add_co_u32 v0, s0, v18, v0
	v_add_nc_u32_e32 v14, 0x276, v190
	v_mov_b32_e32 v2, v4
	s_wait_alu 0xf1ff
	v_add_co_ci_u32_e64 v1, s0, v19, v1, s0
	v_add_co_u32 v4, s0, v18, v5
	s_wait_alu 0xf1ff
	v_add_co_ci_u32_e64 v5, s0, v19, v6, s0
	v_mov_b32_e32 v11, v7
	v_mad_co_u64_u32 v[8:9], null, s8, v14, 0
	v_mad_co_u64_u32 v[6:7], null, s9, v12, v[2:3]
	;; [unrolled: 1-line block ×3, first 2 shown]
	s_clause 0x1
	global_load_b128 v[64:67], v[0:1], off
	global_load_b128 v[68:71], v[4:5], off
	v_lshlrev_b64_e32 v[0:1], 4, v[10:11]
	v_mov_b32_e32 v2, v9
	v_mov_b32_e32 v4, v6
	s_delay_alu instid0(VALU_DEP_2) | instskip(NEXT) | instid1(VALU_DEP_2)
	v_mad_co_u64_u32 v[9:10], null, s9, v14, v[2:3]
	v_lshlrev_b64_e32 v[3:4], 4, v[3:4]
	v_mov_b32_e32 v2, v13
	v_add_nc_u32_e32 v10, 0x348, v190
	v_add_co_u32 v0, s0, v18, v0
	s_wait_alu 0xf1ff
	v_add_co_ci_u32_e64 v1, s0, v19, v1, s0
	v_mad_co_u64_u32 v[5:6], null, s9, v15, v[2:3]
	v_lshlrev_b64_e32 v[6:7], 4, v[8:9]
	v_mad_co_u64_u32 v[8:9], null, s8, v10, 0
	v_add_co_u32 v2, s0, v18, v3
	s_wait_alu 0xf1ff
	v_add_co_ci_u32_e64 v3, s0, v19, v4, s0
	v_mov_b32_e32 v13, v5
	s_clause 0x1
	global_load_b128 v[80:83], v[0:1], off
	global_load_b128 v[88:91], v[2:3], off
	v_mov_b32_e32 v2, v9
	v_add_nc_u32_e32 v14, 0x3b1, v190
	v_lshlrev_b64_e32 v[3:4], 4, v[12:13]
	v_add_co_u32 v0, s0, v18, v6
	s_wait_alu 0xf1ff
	v_add_co_ci_u32_e64 v1, s0, v19, v7, s0
	v_mad_co_u64_u32 v[12:13], null, s8, v17, 0
	s_delay_alu instid0(VALU_DEP_4)
	v_mad_co_u64_u32 v[5:6], null, s9, v10, v[2:3]
	v_mad_co_u64_u32 v[6:7], null, s8, v14, 0
	;; [unrolled: 1-line block ×3, first 2 shown]
	v_add_co_u32 v2, s0, v18, v3
	s_wait_alu 0xf1ff
	v_add_co_ci_u32_e64 v3, s0, v19, v4, s0
	s_delay_alu instid0(VALU_DEP_4) | instskip(NEXT) | instid1(VALU_DEP_4)
	v_dual_mov_b32 v9, v5 :: v_dual_mov_b32 v4, v7
	v_mov_b32_e32 v5, v11
	s_clause 0x1
	global_load_b128 v[100:103], v[0:1], off
	global_load_b128 v[96:99], v[2:3], off
	v_mov_b32_e32 v0, v13
	v_lshlrev_b64_e32 v[1:2], 4, v[8:9]
	v_mad_co_u64_u32 v[14:15], null, s9, v14, v[4:5]
	v_mad_co_u64_u32 v[4:5], null, s9, v16, v[5:6]
	;; [unrolled: 1-line block ×3, first 2 shown]
	s_delay_alu instid0(VALU_DEP_3) | instskip(NEXT) | instid1(VALU_DEP_3)
	v_mov_b32_e32 v7, v14
	v_mov_b32_e32 v11, v4
	v_mad_co_u64_u32 v[3:4], null, s9, v17, v[0:1]
	s_delay_alu instid0(VALU_DEP_4)
	v_mov_b32_e32 v0, v16
	v_add_co_u32 v1, s0, v18, v1
	v_lshlrev_b64_e32 v[4:5], 4, v[6:7]
	s_wait_alu 0xf1ff
	v_add_co_ci_u32_e64 v2, s0, v19, v2, s0
	v_mov_b32_e32 v13, v3
	v_mad_co_u64_u32 v[6:7], null, s9, v20, v[0:1]
	v_lshlrev_b64_e32 v[7:8], 4, v[10:11]
	v_add_co_u32 v3, s0, v18, v4
	s_wait_alu 0xf1ff
	v_add_co_ci_u32_e64 v4, s0, v19, v5, s0
	v_lshlrev_b64_e32 v[9:10], 4, v[12:13]
	v_mov_b32_e32 v16, v6
	v_add_co_u32 v5, s0, v18, v7
	s_wait_alu 0xf1ff
	v_add_co_ci_u32_e64 v6, s0, v19, v8, s0
	s_delay_alu instid0(VALU_DEP_3) | instskip(SKIP_3) | instid1(VALU_DEP_3)
	v_lshlrev_b64_e32 v[7:8], 4, v[15:16]
	v_add_co_u32 v9, s0, v18, v9
	s_wait_alu 0xf1ff
	v_add_co_ci_u32_e64 v10, s0, v19, v10, s0
                                        ; implicit-def: $vgpr12_vgpr13
                                        ; implicit-def: $vgpr16_vgpr17
	v_add_co_u32 v7, s0, v18, v7
	s_wait_alu 0xf1ff
	v_add_co_ci_u32_e64 v8, s0, v19, v8, s0
	s_clause 0x4
	global_load_b128 v[92:95], v[1:2], off
	global_load_b128 v[84:87], v[3:4], off
	;; [unrolled: 1-line block ×5, first 2 shown]
                                        ; implicit-def: $vgpr0_vgpr1
                                        ; implicit-def: $vgpr4_vgpr5
                                        ; implicit-def: $vgpr8_vgpr9
	v_cmpx_gt_u32_e32 14, v190
	s_cbranch_execz .LBB0_12
; %bb.11:
	v_add_nc_u32_e32 v4, 0x5b, v190
	v_add_nc_u32_e32 v6, 0xc4, v190
	;; [unrolled: 1-line block ×5, first 2 shown]
	v_mad_co_u64_u32 v[0:1], null, s8, v4, 0
	v_mad_co_u64_u32 v[2:3], null, s8, v6, 0
	;; [unrolled: 1-line block ×5, first 2 shown]
	s_delay_alu instid0(VALU_DEP_4) | instskip(NEXT) | instid1(VALU_DEP_1)
	v_mad_co_u64_u32 v[4:5], null, s9, v4, v[1:2]
	v_dual_mov_b32 v1, v4 :: v_dual_add_nc_u32 v40, 0x3a3, v190
	v_mad_co_u64_u32 v[5:6], null, s9, v6, v[3:4]
	v_mov_b32_e32 v4, v9
	s_delay_alu instid0(VALU_DEP_3) | instskip(NEXT) | instid1(VALU_DEP_3)
	v_lshlrev_b64_e32 v[0:1], 4, v[0:1]
	v_mov_b32_e32 v3, v5
	s_delay_alu instid0(VALU_DEP_3) | instskip(SKIP_1) | instid1(VALU_DEP_4)
	v_mad_co_u64_u32 v[4:5], null, s9, v7, v[4:5]
	v_add_nc_u32_e32 v12, 0x196, v190
	v_add_co_u32 v0, s0, v18, v0
	s_delay_alu instid0(VALU_DEP_4)
	v_lshlrev_b64_e32 v[2:3], 4, v[2:3]
	s_wait_alu 0xf1ff
	v_add_co_ci_u32_e64 v1, s0, v19, v1, s0
	v_mov_b32_e32 v9, v4
	v_mad_co_u64_u32 v[10:11], null, s8, v12, 0
	v_add_nc_u32_e32 v13, 0x1ff, v190
	v_add_co_u32 v5, s0, v18, v2
	s_delay_alu instid0(VALU_DEP_4) | instskip(NEXT) | instid1(VALU_DEP_4)
	v_lshlrev_b64_e32 v[8:9], 4, v[8:9]
	v_mov_b32_e32 v6, v11
	s_delay_alu instid0(VALU_DEP_4) | instskip(NEXT) | instid1(VALU_DEP_2)
	v_mad_co_u64_u32 v[16:17], null, s8, v13, 0
	v_mad_co_u64_u32 v[11:12], null, s9, v12, v[6:7]
	s_wait_alu 0xf1ff
	v_add_co_ci_u32_e64 v6, s0, v19, v3, s0
	s_delay_alu instid0(VALU_DEP_3) | instskip(SKIP_3) | instid1(VALU_DEP_3)
	v_mov_b32_e32 v12, v17
	v_add_co_u32 v8, s0, v18, v8
	s_wait_alu 0xf1ff
	v_add_co_ci_u32_e64 v9, s0, v19, v9, s0
	v_mad_co_u64_u32 v[12:13], null, s9, v13, v[12:13]
	v_lshlrev_b64_e32 v[10:11], 4, v[10:11]
	v_dual_mov_b32 v13, v25 :: v_dual_add_nc_u32 v30, 0x2d1, v190
	s_clause 0x1
	global_load_b128 v[0:3], v[0:1], off
	global_load_b128 v[4:7], v[5:6], off
	v_mov_b32_e32 v17, v12
	v_mad_co_u64_u32 v[26:27], null, s8, v30, 0
	v_add_co_u32 v14, s0, v18, v10
	s_delay_alu instid0(VALU_DEP_3) | instskip(SKIP_2) | instid1(VALU_DEP_3)
	v_lshlrev_b64_e32 v[16:17], 4, v[16:17]
	s_wait_alu 0xf1ff
	v_add_co_ci_u32_e64 v15, s0, v19, v11, s0
	v_mad_co_u64_u32 v[28:29], null, s9, v28, v[13:14]
	v_mov_b32_e32 v25, v27
	s_delay_alu instid0(VALU_DEP_4) | instskip(SKIP_2) | instid1(VALU_DEP_3)
	v_add_co_u32 v16, s0, v18, v16
	s_wait_alu 0xf1ff
	v_add_co_ci_u32_e64 v17, s0, v19, v17, s0
	v_mad_co_u64_u32 v[29:30], null, s9, v30, v[25:26]
	v_dual_mov_b32 v25, v28 :: v_dual_mov_b32 v28, v37
	s_clause 0x1
	global_load_b128 v[8:11], v[8:9], off
	global_load_b128 v[12:15], v[14:15], off
	v_lshlrev_b64_e32 v[24:25], 4, v[24:25]
	v_mad_co_u64_u32 v[37:38], null, s9, v31, v[28:29]
	v_mad_co_u64_u32 v[38:39], null, s8, v40, 0
	v_mov_b32_e32 v27, v29
	s_delay_alu instid0(VALU_DEP_4)
	v_add_co_u32 v24, s0, v18, v24
	s_wait_alu 0xf1ff
	v_add_co_ci_u32_e64 v25, s0, v19, v25, s0
	s_clause 0x1
	global_load_b128 v[32:35], v[16:17], off
	global_load_b128 v[28:31], v[24:25], off
	v_mov_b32_e32 v24, v39
	v_lshlrev_b64_e32 v[26:27], 4, v[26:27]
	s_delay_alu instid0(VALU_DEP_1) | instskip(SKIP_2) | instid1(VALU_DEP_3)
	v_add_co_u32 v16, s0, v18, v26
	v_lshlrev_b64_e32 v[25:26], 4, v[36:37]
	s_wait_alu 0xf1ff
	v_add_co_ci_u32_e64 v17, s0, v19, v27, s0
	s_delay_alu instid0(VALU_DEP_2) | instskip(SKIP_4) | instid1(VALU_DEP_4)
	v_mad_co_u64_u32 v[36:37], null, s9, v40, v[24:25]
	v_add_nc_u32_e32 v44, 0x40c, v190
	v_add_co_u32 v24, s0, v18, v25
	s_wait_alu 0xf1ff
	v_add_co_ci_u32_e64 v25, s0, v19, v26, s0
	v_mov_b32_e32 v39, v36
	v_mad_co_u64_u32 v[40:41], null, s8, v44, 0
	s_delay_alu instid0(VALU_DEP_1) | instskip(NEXT) | instid1(VALU_DEP_1)
	v_dual_mov_b32 v26, v41 :: v_dual_add_nc_u32 v45, 0x475, v190
	v_mad_co_u64_u32 v[42:43], null, s8, v45, 0
	s_delay_alu instid0(VALU_DEP_1) | instskip(NEXT) | instid1(VALU_DEP_1)
	v_dual_mov_b32 v27, v43 :: v_dual_add_nc_u32 v50, 0x4de, v190
	v_mad_co_u64_u32 v[36:37], null, s8, v50, 0
	v_add_nc_u32_e32 v51, 0x547, v190
	s_delay_alu instid0(VALU_DEP_3) | instskip(NEXT) | instid1(VALU_DEP_1)
	v_mad_co_u64_u32 v[43:44], null, s9, v44, v[26:27]
	v_mov_b32_e32 v41, v43
	s_wait_loadcnt 0x0
	v_mad_co_u64_u32 v[26:27], null, s9, v45, v[27:28]
	s_clause 0x1
	global_load_b128 v[56:59], v[16:17], off
	global_load_b128 v[44:47], v[24:25], off
	v_mov_b32_e32 v16, v37
	v_mad_co_u64_u32 v[48:49], null, s8, v51, 0
	v_lshlrev_b64_e32 v[24:25], 4, v[38:39]
	s_delay_alu instid0(VALU_DEP_3)
	v_mad_co_u64_u32 v[16:17], null, s9, v50, v[16:17]
	v_mov_b32_e32 v43, v26
	v_lshlrev_b64_e32 v[26:27], 4, v[40:41]
	v_mov_b32_e32 v17, v49
	v_add_co_u32 v24, s0, v18, v24
	s_wait_alu 0xf1ff
	v_add_co_ci_u32_e64 v25, s0, v19, v25, s0
	s_delay_alu instid0(VALU_DEP_3)
	v_mad_co_u64_u32 v[38:39], null, s9, v51, v[17:18]
	v_mov_b32_e32 v37, v16
	v_lshlrev_b64_e32 v[39:40], 4, v[42:43]
	v_add_co_u32 v16, s0, v18, v26
	s_wait_alu 0xf1ff
	v_add_co_ci_u32_e64 v17, s0, v19, v27, s0
	v_mov_b32_e32 v49, v38
	v_lshlrev_b64_e32 v[26:27], 4, v[36:37]
	v_add_co_u32 v36, s0, v18, v39
	s_wait_alu 0xf1ff
	v_add_co_ci_u32_e64 v37, s0, v19, v40, s0
	v_lshlrev_b64_e32 v[38:39], 4, v[48:49]
	s_delay_alu instid0(VALU_DEP_4) | instskip(SKIP_2) | instid1(VALU_DEP_3)
	v_add_co_u32 v26, s0, v18, v26
	s_wait_alu 0xf1ff
	v_add_co_ci_u32_e64 v27, s0, v19, v27, s0
	v_add_co_u32 v18, s0, v18, v38
	s_wait_alu 0xf1ff
	v_add_co_ci_u32_e64 v19, s0, v19, v39, s0
	s_clause 0x4
	global_load_b128 v[48:51], v[24:25], off
	global_load_b128 v[40:43], v[16:17], off
	;; [unrolled: 1-line block ×5, first 2 shown]
.LBB0_12:
	s_wait_alu 0xfffe
	s_or_b32 exec_lo, exec_lo, s2
.LBB0_13:
	s_wait_alu 0xfffe
	s_or_b32 exec_lo, exec_lo, s1
	s_wait_loadcnt 0x0
	v_add_f64_e32 v[106:107], v[20:21], v[72:73]
	s_mov_b32 s2, 0xb2365da1
	s_mov_b32 s6, 0xd0032e0c
	;; [unrolled: 1-line block ×6, first 2 shown]
	v_add_f64_e64 v[104:105], v[74:75], -v[22:23]
	v_add_f64_e32 v[108:109], v[52:53], v[64:65]
	s_mov_b32 s0, 0x2ef20147
	s_mov_b32 s18, 0x24c2f84
	;; [unrolled: 1-line block ×15, first 2 shown]
	s_wait_alu 0xfffe
	s_mov_b32 s38, s0
	v_add_f64_e64 v[118:119], v[66:67], -v[54:55]
	v_add_f64_e32 v[122:123], v[76:77], v[68:69]
	v_add_f64_e64 v[142:143], v[6:7], -v[18:19]
	s_mov_b32 s24, 0x66966769
	s_mov_b32 s28, 0x4267c47c
	;; [unrolled: 1-line block ×10, first 2 shown]
	v_mul_f64_e32 v[110:111], s[2:3], v[106:107]
	v_mul_f64_e32 v[112:113], s[6:7], v[106:107]
	;; [unrolled: 1-line block ×6, first 2 shown]
	s_mov_b32 s40, s36
	s_wait_alu 0xfffe
	s_mov_b32 s26, s24
	v_mul_f64_e32 v[138:139], s[6:7], v[108:109]
	v_mul_f64_e32 v[144:145], s[22:23], v[108:109]
	;; [unrolled: 1-line block ×3, first 2 shown]
	s_mov_b32 s16, s18
	s_mov_b32 s42, s28
	v_add_f64_e64 v[126:127], v[70:71], -v[78:79]
	v_add_f64_e32 v[130:131], v[84:85], v[80:81]
	v_mul_f64_e32 v[154:155], s[2:3], v[108:109]
	v_mul_f64_e32 v[160:161], s[12:13], v[108:109]
	v_add_f64_e32 v[106:107], v[16:17], v[4:5]
	v_add_f64_e64 v[168:169], v[10:11], -v[26:27]
	v_mul_f64_e32 v[172:173], s[14:15], v[108:109]
	v_add_f64_e64 v[132:133], v[82:83], -v[86:87]
	v_add_f64_e32 v[134:135], v[92:93], v[88:89]
	v_add_f64_e32 v[152:153], v[96:97], v[100:101]
	v_add_f64_e64 v[136:137], v[90:91], -v[94:95]
	v_add_f64_e64 v[158:159], v[102:103], -v[98:99]
	v_add_f64_e32 v[164:165], v[72:73], v[60:61]
	v_mul_f64_e32 v[170:171], s[20:21], v[122:123]
	v_mul_f64_e32 v[178:179], s[6:7], v[122:123]
	;; [unrolled: 1-line block ×7, first 2 shown]
	v_and_b32_e32 v191, 1, v191
	v_fma_f64 v[140:141], v[104:105], s[0:1], v[110:111]
	v_fma_f64 v[146:147], v[104:105], s[18:19], v[112:113]
	;; [unrolled: 1-line block ×6, first 2 shown]
	s_wait_alu 0xfffe
	v_fma_f64 v[162:163], v[104:105], s[26:27], v[120:121]
	v_fma_f64 v[112:113], v[104:105], s[16:17], v[112:113]
	;; [unrolled: 1-line block ×10, first 2 shown]
	v_add_f64_e32 v[110:111], v[24:25], v[8:9]
	v_mul_f64_e32 v[180:181], s[22:23], v[130:131]
	v_mul_f64_e32 v[184:185], s[14:15], v[130:131]
	v_fma_f64 v[202:203], v[118:119], s[38:39], v[154:155]
	v_fma_f64 v[208:209], v[118:119], s[30:31], v[160:161]
	;; [unrolled: 1-line block ×9, first 2 shown]
	v_fma_f64 v[124:125], v[106:107], s[20:21], -v[108:109]
	v_mul_f64_e32 v[182:183], s[12:13], v[130:131]
	v_mul_f64_e32 v[186:187], s[12:13], v[134:135]
	;; [unrolled: 1-line block ×9, first 2 shown]
	v_add_f64_e32 v[140:141], v[60:61], v[140:141]
	v_add_f64_e32 v[146:147], v[60:61], v[146:147]
	;; [unrolled: 1-line block ×11, first 2 shown]
	v_mul_f64_e32 v[112:113], s[40:41], v[168:169]
	v_mul_f64_e32 v[220:221], s[22:23], v[134:135]
	;; [unrolled: 1-line block ×8, first 2 shown]
	v_fma_f64 v[236:237], v[126:127], s[24:25], v[122:123]
	v_fma_f64 v[118:119], v[118:119], s[40:41], v[172:173]
	v_add_f64_e32 v[60:61], v[60:61], v[104:105]
	v_mul_f64_e32 v[104:105], s[40:41], v[142:143]
	v_add_f64_e32 v[124:125], v[0:1], v[124:125]
	v_fma_f64 v[232:233], v[132:133], s[30:31], v[182:183]
	v_fma_f64 v[182:183], v[132:133], s[34:35], v[182:183]
	;; [unrolled: 1-line block ×9, first 2 shown]
	v_add_f64_e32 v[140:141], v[188:189], v[140:141]
	v_add_f64_e32 v[146:147], v[194:195], v[146:147]
	v_fma_f64 v[194:195], v[126:127], s[18:19], v[178:179]
	v_add_f64_e32 v[150:151], v[196:197], v[150:151]
	v_fma_f64 v[178:179], v[126:127], s[16:17], v[178:179]
	v_add_f64_e32 v[114:115], v[148:149], v[114:115]
	v_add_f64_e32 v[138:139], v[138:139], v[166:167]
	v_fma_f64 v[188:189], v[126:127], s[36:37], v[176:177]
	v_fma_f64 v[148:149], v[126:127], s[30:31], v[200:201]
	v_add_f64_e32 v[156:157], v[202:203], v[156:157]
	v_fma_f64 v[202:203], v[126:127], s[0:1], v[206:207]
	v_add_f64_e32 v[162:163], v[208:209], v[162:163]
	v_fma_f64 v[208:209], v[132:133], s[24:25], v[180:181]
	v_fma_f64 v[166:167], v[132:133], s[40:41], v[184:185]
	;; [unrolled: 1-line block ×4, first 2 shown]
	v_add_f64_e32 v[144:145], v[144:145], v[218:219]
	v_add_f64_e32 v[174:175], v[222:223], v[174:175]
	;; [unrolled: 1-line block ×4, first 2 shown]
	v_fma_f64 v[116:117], v[110:111], s[14:15], -v[112:113]
	v_mul_f64_e32 v[196:197], s[12:13], v[106:107]
	v_fma_f64 v[218:219], v[136:137], s[30:31], v[186:187]
	v_fma_f64 v[222:223], v[136:137], s[0:1], v[198:199]
	;; [unrolled: 1-line block ×6, first 2 shown]
	v_add_f64_e32 v[60:61], v[118:119], v[60:61]
	v_mul_f64_e32 v[118:119], s[16:17], v[142:143]
	v_add_f64_e32 v[140:141], v[230:231], v[140:141]
	v_fma_f64 v[230:231], v[126:127], s[26:27], v[122:123]
	v_mul_f64_e32 v[122:123], s[30:31], v[168:169]
	v_add_f64_e32 v[150:151], v[194:195], v[150:151]
	v_fma_f64 v[194:195], v[158:159], s[28:29], v[226:227]
	v_add_f64_e32 v[178:179], v[178:179], v[114:115]
	v_add_f64_e32 v[138:139], v[170:171], v[138:139]
	v_fma_f64 v[170:171], v[126:127], s[34:35], v[200:201]
	v_fma_f64 v[200:201], v[126:127], s[38:39], v[206:207]
	v_mul_f64_e32 v[126:127], s[20:21], v[110:111]
	v_add_f64_e32 v[146:147], v[188:189], v[146:147]
	v_fma_f64 v[188:189], v[136:137], s[24:25], v[220:221]
	v_add_f64_e32 v[148:149], v[148:149], v[156:157]
	v_fma_f64 v[156:157], v[136:137], s[40:41], v[224:225]
	;; [unrolled: 2-line block ×3, first 2 shown]
	v_fma_f64 v[204:205], v[158:159], s[38:39], v[210:211]
	v_fma_f64 v[210:211], v[158:159], s[16:17], v[228:229]
	v_add_f64_e32 v[144:145], v[176:177], v[144:145]
	v_fma_f64 v[176:177], v[132:133], s[0:1], v[130:131]
	v_fma_f64 v[206:207], v[132:133], s[16:17], v[214:215]
	;; [unrolled: 1-line block ×3, first 2 shown]
	v_add_f64_e32 v[174:175], v[236:237], v[174:175]
	v_fma_f64 v[216:217], v[136:137], s[18:19], v[134:135]
	v_fma_f64 v[220:221], v[136:137], s[26:27], v[220:221]
	;; [unrolled: 1-line block ×9, first 2 shown]
	v_add_f64_e32 v[136:137], v[116:117], v[124:125]
	v_mul_f64_e32 v[114:115], s[26:27], v[142:143]
	v_mul_f64_e32 v[116:117], s[38:39], v[142:143]
	v_add_f64_e32 v[158:159], v[64:65], v[164:165]
	v_mul_f64_e32 v[124:125], s[18:19], v[168:169]
	v_fma_f64 v[152:153], v[142:143], s[34:35], v[196:197]
	v_add_f64_e32 v[140:141], v[208:209], v[140:141]
	v_fma_f64 v[196:197], v[142:143], s[30:31], v[196:197]
	v_add_f64_e32 v[142:143], v[36:37], v[12:13]
	v_add_f64_e32 v[150:151], v[166:167], v[150:151]
	;; [unrolled: 1-line block ×5, first 2 shown]
	v_add_f64_e64 v[170:171], v[14:15], -v[38:39]
	v_add_f64_e32 v[164:165], v[200:201], v[120:121]
	v_mul_f64_e32 v[120:121], s[38:39], v[168:169]
	v_fma_f64 v[166:167], v[168:169], s[42:43], v[126:127]
	v_fma_f64 v[208:209], v[168:169], s[28:29], v[126:127]
	v_mul_f64_e32 v[126:127], s[24:25], v[168:169]
	v_add_f64_e32 v[168:169], v[184:185], v[178:179]
	v_fma_f64 v[178:179], v[106:107], s[14:15], -v[104:105]
	v_add_f64_e32 v[200:201], v[232:233], v[146:147]
	v_add_f64_e32 v[160:161], v[160:161], v[148:149]
	;; [unrolled: 1-line block ×3, first 2 shown]
	v_fma_f64 v[180:181], v[106:107], s[6:7], -v[118:119]
	v_add_f64_e32 v[182:183], v[182:183], v[144:145]
	v_fma_f64 v[232:233], v[110:111], s[12:13], -v[122:123]
	v_add_f64_e32 v[174:175], v[176:177], v[174:175]
	v_add_f64_e64 v[176:177], v[34:35], -v[42:43]
	v_fma_f64 v[184:185], v[106:107], s[22:23], -v[114:115]
	v_fma_f64 v[172:173], v[106:107], s[2:3], -v[116:117]
	v_add_f64_e32 v[140:141], v[218:219], v[140:141]
	v_add_f64_e32 v[222:223], v[222:223], v[150:151]
	;; [unrolled: 1-line block ×5, first 2 shown]
	v_mul_f64_e32 v[144:145], s[26:27], v[170:171]
	v_add_f64_e32 v[164:165], v[214:215], v[164:165]
	v_mul_f64_e32 v[146:147], s[30:31], v[170:171]
	v_add_f64_e32 v[214:215], v[68:69], v[158:159]
	v_fma_f64 v[218:219], v[110:111], s[2:3], -v[120:121]
	v_mul_f64_e32 v[148:149], s[0:1], v[170:171]
	v_add_f64_e32 v[198:199], v[198:199], v[168:169]
	v_add_f64_e32 v[178:179], v[0:1], v[178:179]
	;; [unrolled: 1-line block ×3, first 2 shown]
	v_fma_f64 v[168:169], v[110:111], s[6:7], -v[124:125]
	v_add_f64_e32 v[188:189], v[188:189], v[160:161]
	v_fma_f64 v[160:161], v[110:111], s[22:23], -v[126:127]
	v_add_f64_e32 v[180:181], v[0:1], v[180:181]
	v_add_f64_e32 v[234:235], v[0:1], v[152:153]
	;; [unrolled: 1-line block ×3, first 2 shown]
	v_mul_f64_e32 v[152:153], s[28:29], v[170:171]
	v_mul_f64_e32 v[154:155], s[40:41], v[170:171]
	v_add_f64_e32 v[192:193], v[192:193], v[182:183]
	v_add_f64_e32 v[158:159], v[40:41], v[32:33]
	v_add_f64_e32 v[216:217], v[216:217], v[174:175]
	v_mul_f64_e32 v[162:163], s[6:7], v[142:143]
	v_add_f64_e32 v[174:175], v[0:1], v[196:197]
	v_mul_f64_e32 v[150:151], s[38:39], v[176:177]
	v_mul_f64_e32 v[156:157], s[18:19], v[176:177]
	v_add_f64_e32 v[184:185], v[0:1], v[184:185]
	v_add_f64_e32 v[172:173], v[0:1], v[172:173]
	;; [unrolled: 1-line block ×7, first 2 shown]
	v_fma_f64 v[164:165], v[142:143], s[22:23], -v[144:145]
	v_add_f64_e32 v[182:183], v[80:81], v[214:215]
	v_fma_f64 v[186:187], v[142:143], s[12:13], -v[146:147]
	v_add_f64_e32 v[224:225], v[238:239], v[140:141]
	v_add_f64_e32 v[198:199], v[212:213], v[198:199]
	;; [unrolled: 1-line block ×6, first 2 shown]
	v_fma_f64 v[214:215], v[142:143], s[20:21], -v[152:153]
	v_fma_f64 v[218:219], v[142:143], s[14:15], -v[154:155]
	v_add_f64_e32 v[204:205], v[204:205], v[192:193]
	v_mul_f64_e32 v[220:221], s[14:15], v[158:159]
	v_add_f64_e32 v[216:217], v[236:237], v[216:217]
	v_add_f64_e32 v[174:175], v[208:209], v[174:175]
	v_fma_f64 v[208:209], v[170:171], s[18:19], v[162:163]
	v_fma_f64 v[170:171], v[170:171], s[16:17], v[162:163]
	v_mul_f64_e32 v[162:163], s[26:27], v[176:177]
	v_add_f64_e32 v[184:185], v[232:233], v[184:185]
	v_add_f64_e32 v[168:169], v[168:169], v[172:173]
	;; [unrolled: 1-line block ×4, first 2 shown]
	v_fma_f64 v[166:167], v[142:143], s[2:3], -v[148:149]
	v_mul_f64_e32 v[160:161], s[28:29], v[176:177]
	v_add_f64_e32 v[196:197], v[226:227], v[196:197]
	v_add_f64_e32 v[206:207], v[228:229], v[206:207]
	;; [unrolled: 1-line block ×3, first 2 shown]
	v_fma_f64 v[164:165], v[158:159], s[2:3], -v[150:151]
	v_add_f64_e32 v[182:183], v[88:89], v[182:183]
	v_add_f64_e32 v[228:229], v[134:135], v[60:61]
	;; [unrolled: 1-line block ×3, first 2 shown]
	v_add_f64_e64 v[186:187], v[30:31], -v[50:51]
	v_fma_f64 v[230:231], v[176:177], s[40:41], v[220:221]
	v_add_f64_e32 v[214:215], v[214:215], v[168:169]
	v_add_f64_e32 v[218:219], v[218:219], v[172:173]
	v_fma_f64 v[168:169], v[158:159], s[6:7], -v[156:157]
	v_add_f64_e32 v[184:185], v[166:167], v[184:185]
	v_mul_f64_e32 v[166:167], s[34:35], v[176:177]
	v_add_f64_e32 v[180:181], v[208:209], v[180:181]
	v_add_f64_e32 v[208:209], v[170:171], v[174:175]
	v_fma_f64 v[174:175], v[158:159], s[22:23], -v[162:163]
	v_add_f64_e32 v[172:173], v[48:49], v[28:29]
	v_fma_f64 v[176:177], v[176:177], s[36:37], v[220:221]
	v_add_f64_e32 v[130:131], v[164:165], v[136:137]
	v_fma_f64 v[136:137], v[158:159], s[20:21], -v[160:161]
	v_add_f64_e32 v[182:183], v[100:101], v[182:183]
	v_mul_f64_e32 v[164:165], s[16:17], v[186:187]
	v_mul_f64_e32 v[170:171], s[40:41], v[186:187]
	v_add_f64_e32 v[140:141], v[168:169], v[178:179]
	v_mul_f64_e32 v[168:169], s[24:25], v[186:187]
	v_fma_f64 v[178:179], v[158:159], s[12:13], -v[166:167]
	v_add_f64_e32 v[220:221], v[230:231], v[180:181]
	v_add_f64_e32 v[208:209], v[176:177], v[208:209]
	v_mul_f64_e32 v[176:177], s[28:29], v[186:187]
	v_add_f64_e32 v[136:137], v[136:137], v[184:185]
	v_add_f64_e32 v[184:185], v[174:175], v[214:215]
	v_mul_f64_e32 v[174:175], s[34:35], v[186:187]
	v_add_f64_e32 v[182:183], v[96:97], v[182:183]
	v_fma_f64 v[214:215], v[172:173], s[6:7], -v[164:165]
	v_fma_f64 v[180:181], v[172:173], s[14:15], -v[170:171]
	v_add_f64_e32 v[218:219], v[178:179], v[218:219]
	v_fma_f64 v[178:179], v[172:173], s[22:23], -v[168:169]
	v_fma_f64 v[132:133], v[172:173], s[12:13], -v[174:175]
	v_add_f64_e32 v[182:183], v[92:93], v[182:183]
	v_add_f64_e32 v[130:131], v[214:215], v[130:131]
	v_mul_f64_e32 v[214:215], s[2:3], v[172:173]
	v_add_f64_e32 v[136:137], v[180:181], v[136:137]
	v_fma_f64 v[180:181], v[172:173], s[20:21], -v[176:177]
	v_add_f64_e32 v[140:141], v[178:179], v[140:141]
	v_add_f64_e32 v[178:179], v[44:45], v[56:57]
	;; [unrolled: 1-line block ×4, first 2 shown]
	v_fma_f64 v[184:185], v[186:187], s[0:1], v[214:215]
	v_fma_f64 v[186:187], v[186:187], s[38:39], v[214:215]
	v_add_f64_e64 v[214:215], v[58:59], -v[46:47]
	v_add_f64_e32 v[218:219], v[180:181], v[218:219]
	v_cmp_eq_u32_e64 s0, 1, v191
	v_cmp_gt_u32_e64 s1, 14, v190
	v_mul_f64_e32 v[230:231], s[22:23], v[178:179]
	v_add_f64_e32 v[212:213], v[76:77], v[182:183]
	v_add_f64_e32 v[220:221], v[184:185], v[220:221]
	;; [unrolled: 1-line block ×3, first 2 shown]
	v_mul_f64_e32 v[180:181], s[30:31], v[214:215]
	v_mul_f64_e32 v[182:183], s[28:29], v[214:215]
	;; [unrolled: 1-line block ×5, first 2 shown]
	v_fma_f64 v[232:233], v[214:215], s[26:27], v[230:231]
	v_fma_f64 v[230:231], v[214:215], s[24:25], v[230:231]
	v_add_f64_e32 v[212:213], v[52:53], v[212:213]
	v_fma_f64 v[138:139], v[178:179], s[12:13], -v[180:181]
	v_fma_f64 v[192:193], v[178:179], s[20:21], -v[182:183]
	;; [unrolled: 1-line block ×5, first 2 shown]
	v_add_f64_e32 v[212:213], v[20:21], v[212:213]
	v_add_f64_e32 v[60:61], v[138:139], v[130:131]
	;; [unrolled: 1-line block ×8, first 2 shown]
	v_mad_u32_u24 v193, 0x68, v190, 0
	s_wait_alu 0xf1ff
	v_cndmask_b32_e64 v192, 0, 0x555, s0
	s_delay_alu instid0(VALU_DEP_1)
	v_lshl_add_u32 v191, v192, 3, v193
	ds_store_2addr_b64 v191, v[224:225], v[200:201] offset0:4 offset1:5
	ds_store_2addr_b64 v191, v[222:223], v[198:199] offset0:6 offset1:7
	;; [unrolled: 1-line block ×4, first 2 shown]
	ds_store_2addr_b64 v191, v[212:213], v[216:217] offset1:1
	ds_store_2addr_b64 v191, v[196:197], v[206:207] offset0:2 offset1:3
	ds_store_b64 v191, v[228:229] offset:96
	s_and_saveexec_b32 s0, s1
	s_cbranch_execz .LBB0_15
; %bb.14:
	v_add_f64_e32 v[193:194], v[4:5], v[0:1]
	v_mul_f64_e32 v[195:196], s[6:7], v[106:107]
	v_mul_f64_e32 v[197:198], s[2:3], v[106:107]
	v_mul_f64_e32 v[199:200], s[22:23], v[106:107]
	v_mul_f64_e32 v[201:202], s[14:15], v[106:107]
	v_mul_f64_e32 v[106:107], s[20:21], v[106:107]
	v_mul_f64_e32 v[203:204], s[22:23], v[110:111]
	v_mul_f64_e32 v[205:206], s[6:7], v[110:111]
	v_mul_f64_e32 v[207:208], s[12:13], v[110:111]
	v_mul_f64_e32 v[209:210], s[2:3], v[110:111]
	v_mul_f64_e32 v[110:111], s[14:15], v[110:111]
	v_add_f64_e32 v[193:194], v[8:9], v[193:194]
	v_add_f64_e32 v[118:119], v[118:119], v[195:196]
	;; [unrolled: 1-line block ×6, first 2 shown]
	v_mul_f64_e32 v[108:109], s[22:23], v[142:143]
	v_mul_f64_e32 v[195:196], s[12:13], v[142:143]
	;; [unrolled: 1-line block ×5, first 2 shown]
	v_add_f64_e32 v[126:127], v[126:127], v[203:204]
	v_add_f64_e32 v[124:125], v[124:125], v[205:206]
	;; [unrolled: 1-line block ×5, first 2 shown]
	v_mul_f64_e32 v[201:202], s[20:21], v[158:159]
	v_mul_f64_e32 v[203:204], s[22:23], v[158:159]
	v_add_f64_e32 v[193:194], v[12:13], v[193:194]
	v_add_f64_e32 v[112:113], v[0:1], v[118:119]
	;; [unrolled: 1-line block ×6, first 2 shown]
	v_mul_f64_e32 v[106:107], s[2:3], v[158:159]
	v_add_f64_e32 v[146:147], v[146:147], v[195:196]
	v_add_f64_e32 v[148:149], v[148:149], v[197:198]
	;; [unrolled: 1-line block ×12, first 2 shown]
	v_mul_f64_e32 v[124:125], s[12:13], v[172:173]
	v_mul_f64_e32 v[126:127], s[20:21], v[172:173]
	v_mul_f64_e32 v[120:121], s[22:23], v[172:173]
	v_mul_f64_e32 v[122:123], s[14:15], v[172:173]
	v_mul_f64_e32 v[110:111], s[6:7], v[172:173]
	v_add_f64_e32 v[106:107], v[150:151], v[106:107]
	v_mul_f64_e32 v[150:151], s[2:3], v[178:179]
	v_add_f64_e32 v[193:194], v[28:29], v[193:194]
	v_add_f64_e32 v[112:113], v[142:143], v[112:113]
	;; [unrolled: 1-line block ×6, first 2 shown]
	v_mul_f64_e32 v[148:149], s[14:15], v[178:179]
	v_add_f64_e32 v[126:127], v[176:177], v[126:127]
	v_add_f64_e32 v[124:125], v[174:175], v[124:125]
	v_mul_f64_e32 v[142:143], s[20:21], v[178:179]
	v_mul_f64_e32 v[146:147], s[6:7], v[178:179]
	v_add_f64_e32 v[122:123], v[170:171], v[122:123]
	v_add_f64_e32 v[120:121], v[168:169], v[120:121]
	v_mul_f64_e32 v[108:109], s[12:13], v[178:179]
	v_add_f64_e32 v[110:111], v[164:165], v[110:111]
	v_add_f64_e32 v[193:194], v[56:57], v[193:194]
	;; [unrolled: 1-line block ×9, first 2 shown]
	v_mul_f64_e32 v[193:194], s[6:7], v[158:159]
	v_mul_f64_e32 v[158:159], s[12:13], v[158:159]
	v_add_f64_e32 v[116:117], v[124:125], v[116:117]
	v_add_f64_e32 v[0:1], v[110:111], v[0:1]
	;; [unrolled: 1-line block ×7, first 2 shown]
	v_add_nc_u32_e32 v109, 0x2508, v191
	v_add_nc_u32_e32 v108, 0x24f8, v191
	v_add_f64_e32 v[118:119], v[40:41], v[118:119]
	v_add_f64_e32 v[104:105], v[156:157], v[104:105]
	;; [unrolled: 1-line block ×10, first 2 shown]
	v_add_nc_u32_e32 v116, 0x2518, v191
	v_add_nc_u32_e32 v117, 0x2528, v191
	v_add_f64_e32 v[118:119], v[24:25], v[118:119]
	v_add_f64_e32 v[104:105], v[142:143], v[104:105]
	;; [unrolled: 1-line block ×4, first 2 shown]
	s_delay_alu instid0(VALU_DEP_4)
	v_add_f64_e32 v[114:115], v[16:17], v[118:119]
	v_add_nc_u32_e32 v118, 0x2538, v191
	v_add_nc_u32_e32 v119, 0x2548, v191
	ds_store_2addr_b64 v109, v[140:141], v[138:139] offset1:1
	ds_store_2addr_b64 v116, v[136:137], v[134:135] offset1:1
	;; [unrolled: 1-line block ×6, first 2 shown]
	ds_store_b64 v191, v[0:1] offset:9560
.LBB0_15:
	s_wait_alu 0xfffe
	s_or_b32 exec_lo, exec_lo, s0
	v_lshlrev_b32_e32 v158, 3, v192
	v_lshlrev_b32_e32 v0, 3, v190
	global_wb scope:SCOPE_SE
	s_wait_dscnt 0x0
	s_barrier_signal -1
	s_barrier_wait -1
	global_inv scope:SCOPE_SE
	v_add3_u32 v157, 0, v0, v158
	v_add3_u32 v156, 0, v158, v0
	v_cmp_gt_u32_e64 s0, 13, v190
	s_delay_alu instid0(VALU_DEP_3)
	v_add_nc_u32_e32 v0, 0x800, v157
	v_add_nc_u32_e32 v1, 0xc00, v157
	;; [unrolled: 1-line block ×5, first 2 shown]
	ds_load_2addr_b64 v[104:107], v157 offset0:91 offset1:195
	ds_load_2addr_b64 v[120:123], v0 offset0:30 offset1:134
	;; [unrolled: 1-line block ×6, first 2 shown]
	ds_load_b64 v[142:143], v156
	ds_load_b64 v[144:145], v157 offset:10088
	s_and_saveexec_b32 s2, s0
	s_cbranch_execz .LBB0_17
; %bb.16:
	v_add_nc_u32_e32 v0, 0x1e00, v157
	v_add_nc_u32_e32 v1, 0x1000, v157
	;; [unrolled: 1-line block ×3, first 2 shown]
	ds_load_2addr_b64 v[134:137], v0 offset0:2 offset1:197
	ds_load_2addr_b64 v[138:141], v1 offset0:60 offset1:255
	;; [unrolled: 1-line block ×3, first 2 shown]
	ds_load_b64 v[130:131], v157 offset:10816
	s_wait_dscnt 0x3
	v_dual_mov_b32 v132, v136 :: v_dual_mov_b32 v133, v137
	s_wait_dscnt 0x2
	v_dual_mov_b32 v136, v140 :: v_dual_mov_b32 v137, v141
	s_wait_dscnt 0x1
	v_mov_b32_e32 v140, v148
	v_dual_mov_b32 v60, v146 :: v_dual_mov_b32 v61, v147
	v_mov_b32_e32 v141, v149
.LBB0_17:
	s_wait_alu 0xfffe
	s_or_b32 exec_lo, exec_lo, s2
	v_add_f64_e32 v[0:1], v[74:75], v[62:63]
	v_add_f64_e64 v[92:93], v[88:89], -v[92:93]
	v_add_f64_e32 v[88:89], v[94:95], v[90:91]
	v_add_f64_e64 v[20:21], v[72:73], -v[20:21]
	s_mov_b32 s30, 0x4267c47c
	s_mov_b32 s26, 0x42a4c3d2
	;; [unrolled: 1-line block ×12, first 2 shown]
	v_add_f64_e64 v[84:85], v[80:81], -v[84:85]
	v_add_f64_e32 v[80:81], v[86:87], v[82:83]
	v_add_f64_e32 v[72:73], v[22:23], v[74:75]
	v_add_f64_e64 v[64:65], v[64:65], -v[52:53]
	s_mov_b32 s6, 0xe00740e9
	s_mov_b32 s2, 0x1ea71119
	;; [unrolled: 1-line block ×13, first 2 shown]
	s_wait_alu 0xfffe
	s_mov_b32 s38, s22
	v_add_f64_e64 v[96:97], v[100:101], -v[96:97]
	v_add_f64_e32 v[52:53], v[54:55], v[66:67]
	s_mov_b32 s35, 0x3fefc445
	s_mov_b32 s34, s28
	v_add_f64_e32 v[0:1], v[66:67], v[0:1]
	v_add_f64_e64 v[68:69], v[68:69], -v[76:77]
	s_mov_b32 s37, 0x3fddbe06
	v_mul_f64_e32 v[74:75], s[30:31], v[20:21]
	s_mov_b32 s36, s30
	s_mov_b32 s43, 0x3fcea1e5
	;; [unrolled: 1-line block ×5, first 2 shown]
	global_wb scope:SCOPE_SE
	s_wait_dscnt 0x0
	s_barrier_signal -1
	s_barrier_wait -1
	global_inv scope:SCOPE_SE
	s_mov_b32 s45, 0x3fedeba7
	s_mov_b32 s44, s20
	v_add_f64_e64 v[16:17], v[4:5], -v[16:17]
	v_add_f64_e64 v[8:9], v[8:9], -v[24:25]
	;; [unrolled: 1-line block ×4, first 2 shown]
	s_wait_alu 0xfffe
	v_mul_f64_e32 v[66:67], s[38:39], v[64:65]
	v_add_f64_e32 v[0:1], v[70:71], v[0:1]
	v_fma_f64 v[100:101], v[72:73], s[6:7], v[74:75]
	v_fma_f64 v[74:75], v[72:73], s[6:7], -v[74:75]
	v_mul_f64_e32 v[4:5], s[30:31], v[16:17]
	v_fma_f64 v[76:77], v[52:53], s[14:15], v[66:67]
	v_fma_f64 v[66:67], v[52:53], s[14:15], -v[66:67]
	v_add_f64_e32 v[0:1], v[82:83], v[0:1]
	v_mul_f64_e32 v[82:83], s[26:27], v[20:21]
	s_delay_alu instid0(VALU_DEP_2) | instskip(NEXT) | instid1(VALU_DEP_1)
	v_add_f64_e32 v[0:1], v[90:91], v[0:1]
	v_add_f64_e32 v[146:147], v[102:103], v[0:1]
	;; [unrolled: 1-line block ×3, first 2 shown]
	s_delay_alu instid0(VALU_DEP_4) | instskip(SKIP_1) | instid1(VALU_DEP_4)
	v_fma_f64 v[102:103], v[72:73], s[2:3], v[82:83]
	v_fma_f64 v[82:83], v[72:73], s[2:3], -v[82:83]
	v_add_f64_e32 v[98:99], v[98:99], v[146:147]
	s_delay_alu instid0(VALU_DEP_1) | instskip(SKIP_2) | instid1(VALU_DEP_3)
	v_add_f64_e32 v[90:91], v[94:95], v[98:99]
	v_mul_f64_e32 v[94:95], s[20:21], v[20:21]
	v_mul_f64_e32 v[98:99], s[22:23], v[20:21]
	v_add_f64_e32 v[86:87], v[86:87], v[90:91]
	v_mul_f64_e32 v[90:91], s[28:29], v[20:21]
	v_mul_f64_e32 v[20:21], s[24:25], v[20:21]
	v_fma_f64 v[148:149], v[72:73], s[12:13], v[94:95]
	v_fma_f64 v[94:95], v[72:73], s[12:13], -v[94:95]
	v_fma_f64 v[150:151], v[72:73], s[14:15], v[98:99]
	v_fma_f64 v[98:99], v[72:73], s[14:15], -v[98:99]
	;; [unrolled: 2-line block ×4, first 2 shown]
	v_add_f64_e32 v[72:73], v[62:63], v[100:101]
	v_add_f64_e32 v[20:21], v[62:63], v[74:75]
	v_add_f64_e32 v[74:75], v[62:63], v[102:103]
	v_add_f64_e32 v[100:101], v[62:63], v[82:83]
	v_add_f64_e32 v[102:103], v[62:63], v[148:149]
	v_add_f64_e32 v[94:95], v[62:63], v[94:95]
	v_add_f64_e32 v[98:99], v[62:63], v[98:99]
	v_add_f64_e32 v[82:83], v[62:63], v[146:147]
	v_add_f64_e32 v[90:91], v[62:63], v[90:91]
	v_add_f64_e32 v[146:147], v[62:63], v[150:151]
	v_add_f64_e32 v[148:149], v[62:63], v[152:153]
	v_add_f64_e32 v[150:151], v[62:63], v[154:155]
	v_add_f64_e32 v[62:63], v[78:79], v[70:71]
	v_add_f64_e32 v[70:71], v[78:79], v[86:87]
	v_mul_f64_e32 v[78:79], s[34:35], v[64:65]
	v_add_f64_e32 v[76:77], v[76:77], v[102:103]
	v_mul_f64_e32 v[102:103], s[36:37], v[64:65]
	v_add_f64_e32 v[66:67], v[66:67], v[94:95]
	v_add_f64_e32 v[54:55], v[54:55], v[70:71]
	v_fma_f64 v[86:87], v[52:53], s[18:19], v[78:79]
	v_fma_f64 v[70:71], v[52:53], s[18:19], -v[78:79]
	s_delay_alu instid0(VALU_DEP_3) | instskip(NEXT) | instid1(VALU_DEP_3)
	v_add_f64_e32 v[22:23], v[22:23], v[54:55]
	v_add_f64_e32 v[86:87], v[86:87], v[146:147]
	v_fma_f64 v[146:147], v[52:53], s[6:7], v[102:103]
	v_fma_f64 v[102:103], v[52:53], s[6:7], -v[102:103]
	v_add_f64_e32 v[70:71], v[70:71], v[98:99]
	s_delay_alu instid0(VALU_DEP_3) | instskip(SKIP_1) | instid1(VALU_DEP_4)
	v_add_f64_e32 v[146:147], v[146:147], v[148:149]
	v_mul_f64_e32 v[148:149], s[36:37], v[68:69]
	v_add_f64_e32 v[102:103], v[102:103], v[150:151]
	s_delay_alu instid0(VALU_DEP_2) | instskip(NEXT) | instid1(VALU_DEP_1)
	v_fma_f64 v[150:151], v[62:63], s[6:7], v[148:149]
	v_add_f64_e32 v[76:77], v[150:151], v[76:77]
	v_mul_f64_e32 v[150:151], s[26:27], v[68:69]
	s_delay_alu instid0(VALU_DEP_1) | instskip(NEXT) | instid1(VALU_DEP_1)
	v_fma_f64 v[152:153], v[62:63], s[2:3], v[150:151]
	v_add_f64_e32 v[86:87], v[152:153], v[86:87]
	v_mul_f64_e32 v[152:153], s[22:23], v[68:69]
	s_delay_alu instid0(VALU_DEP_1) | instskip(SKIP_1) | instid1(VALU_DEP_2)
	v_fma_f64 v[154:155], v[62:63], s[14:15], v[152:153]
	v_fma_f64 v[152:153], v[62:63], s[14:15], -v[152:153]
	v_add_f64_e32 v[146:147], v[154:155], v[146:147]
	s_delay_alu instid0(VALU_DEP_2) | instskip(SKIP_1) | instid1(VALU_DEP_1)
	v_add_f64_e32 v[102:103], v[152:153], v[102:103]
	v_mul_f64_e32 v[152:153], s[28:29], v[84:85]
	v_fma_f64 v[154:155], v[80:81], s[18:19], v[152:153]
	s_delay_alu instid0(VALU_DEP_1) | instskip(SKIP_1) | instid1(VALU_DEP_1)
	v_add_f64_e32 v[76:77], v[154:155], v[76:77]
	v_mul_f64_e32 v[154:155], s[42:43], v[84:85]
	v_fma_f64 v[159:160], v[80:81], s[16:17], v[154:155]
	s_delay_alu instid0(VALU_DEP_1) | instskip(SKIP_1) | instid1(VALU_DEP_1)
	v_add_f64_e32 v[86:87], v[159:160], v[86:87]
	v_mul_f64_e32 v[159:160], s[40:41], v[84:85]
	v_fma_f64 v[161:162], v[80:81], s[2:3], v[159:160]
	v_fma_f64 v[159:160], v[80:81], s[2:3], -v[159:160]
	s_delay_alu instid0(VALU_DEP_2) | instskip(NEXT) | instid1(VALU_DEP_2)
	v_add_f64_e32 v[146:147], v[161:162], v[146:147]
	v_add_f64_e32 v[102:103], v[159:160], v[102:103]
	v_mul_f64_e32 v[159:160], s[42:43], v[92:93]
	s_delay_alu instid0(VALU_DEP_1) | instskip(NEXT) | instid1(VALU_DEP_1)
	v_fma_f64 v[161:162], v[88:89], s[16:17], v[159:160]
	v_add_f64_e32 v[76:77], v[161:162], v[76:77]
	v_mul_f64_e32 v[161:162], s[36:37], v[92:93]
	s_delay_alu instid0(VALU_DEP_1) | instskip(NEXT) | instid1(VALU_DEP_1)
	v_fma_f64 v[163:164], v[88:89], s[6:7], v[161:162]
	v_add_f64_e32 v[86:87], v[163:164], v[86:87]
	v_mul_f64_e32 v[163:164], s[20:21], v[92:93]
	s_delay_alu instid0(VALU_DEP_1) | instskip(SKIP_1) | instid1(VALU_DEP_2)
	v_fma_f64 v[165:166], v[88:89], s[12:13], v[163:164]
	v_fma_f64 v[163:164], v[88:89], s[12:13], -v[163:164]
	v_add_f64_e32 v[146:147], v[165:166], v[146:147]
	s_delay_alu instid0(VALU_DEP_2) | instskip(SKIP_1) | instid1(VALU_DEP_1)
	v_add_f64_e32 v[102:103], v[163:164], v[102:103]
	v_mul_f64_e32 v[163:164], s[40:41], v[96:97]
	v_fma_f64 v[165:166], v[0:1], s[2:3], v[163:164]
	s_delay_alu instid0(VALU_DEP_1) | instskip(SKIP_1) | instid1(VALU_DEP_1)
	v_add_f64_e32 v[76:77], v[165:166], v[76:77]
	v_mul_f64_e32 v[165:166], s[20:21], v[96:97]
	v_fma_f64 v[167:168], v[0:1], s[12:13], v[165:166]
	s_delay_alu instid0(VALU_DEP_1) | instskip(SKIP_1) | instid1(VALU_DEP_1)
	v_add_f64_e32 v[86:87], v[167:168], v[86:87]
	v_mul_f64_e32 v[167:168], s[34:35], v[96:97]
	v_fma_f64 v[169:170], v[0:1], s[18:19], v[167:168]
	v_fma_f64 v[167:168], v[0:1], s[18:19], -v[167:168]
	s_delay_alu instid0(VALU_DEP_2) | instskip(NEXT) | instid1(VALU_DEP_2)
	v_add_f64_e32 v[146:147], v[169:170], v[146:147]
	v_add_f64_e32 v[102:103], v[167:168], v[102:103]
	ds_store_2addr_b64 v191, v[76:77], v[86:87] offset0:4 offset1:5
	ds_store_2addr_b64 v191, v[146:147], v[102:103] offset0:6 offset1:7
	v_mul_f64_e32 v[86:87], s[24:25], v[64:65]
	v_mul_f64_e32 v[76:77], s[20:21], v[64:65]
	;; [unrolled: 1-line block ×3, first 2 shown]
	s_delay_alu instid0(VALU_DEP_3) | instskip(NEXT) | instid1(VALU_DEP_3)
	v_fma_f64 v[94:95], v[52:53], s[16:17], -v[86:87]
	v_fma_f64 v[78:79], v[52:53], s[12:13], -v[76:77]
	v_fma_f64 v[54:55], v[52:53], s[12:13], v[76:77]
	s_delay_alu instid0(VALU_DEP_3) | instskip(SKIP_1) | instid1(VALU_DEP_4)
	v_add_f64_e32 v[90:91], v[94:95], v[90:91]
	v_fma_f64 v[94:95], v[62:63], s[6:7], -v[148:149]
	v_add_f64_e32 v[78:79], v[78:79], v[100:101]
	s_delay_alu instid0(VALU_DEP_4) | instskip(NEXT) | instid1(VALU_DEP_3)
	v_add_f64_e32 v[54:55], v[54:55], v[74:75]
	v_add_f64_e32 v[66:67], v[94:95], v[66:67]
	v_fma_f64 v[94:95], v[62:63], s[2:3], -v[150:151]
	s_delay_alu instid0(VALU_DEP_1) | instskip(SKIP_1) | instid1(VALU_DEP_1)
	v_add_f64_e32 v[70:71], v[94:95], v[70:71]
	v_mul_f64_e32 v[94:95], s[24:25], v[68:69]
	v_fma_f64 v[98:99], v[62:63], s[16:17], -v[94:95]
	s_delay_alu instid0(VALU_DEP_1) | instskip(SKIP_2) | instid1(VALU_DEP_2)
	v_add_f64_e32 v[78:79], v[98:99], v[78:79]
	v_mul_f64_e32 v[98:99], s[44:45], v[68:69]
	v_mul_f64_e32 v[68:69], s[28:29], v[68:69]
	v_fma_f64 v[100:101], v[62:63], s[12:13], -v[98:99]
	s_delay_alu instid0(VALU_DEP_1) | instskip(SKIP_1) | instid1(VALU_DEP_1)
	v_add_f64_e32 v[90:91], v[100:101], v[90:91]
	v_fma_f64 v[100:101], v[80:81], s[18:19], -v[152:153]
	v_add_f64_e32 v[66:67], v[100:101], v[66:67]
	v_fma_f64 v[100:101], v[80:81], s[16:17], -v[154:155]
	s_delay_alu instid0(VALU_DEP_1) | instskip(SKIP_1) | instid1(VALU_DEP_1)
	v_add_f64_e32 v[70:71], v[100:101], v[70:71]
	v_mul_f64_e32 v[100:101], s[38:39], v[84:85]
	v_fma_f64 v[102:103], v[80:81], s[14:15], -v[100:101]
	s_delay_alu instid0(VALU_DEP_1) | instskip(SKIP_1) | instid1(VALU_DEP_1)
	v_add_f64_e32 v[78:79], v[102:103], v[78:79]
	v_mul_f64_e32 v[102:103], s[36:37], v[84:85]
	v_fma_f64 v[146:147], v[80:81], s[6:7], -v[102:103]
	s_delay_alu instid0(VALU_DEP_1) | instskip(SKIP_1) | instid1(VALU_DEP_1)
	v_add_f64_e32 v[90:91], v[146:147], v[90:91]
	v_fma_f64 v[146:147], v[88:89], s[16:17], -v[159:160]
	v_add_f64_e32 v[66:67], v[146:147], v[66:67]
	v_fma_f64 v[146:147], v[88:89], s[6:7], -v[161:162]
	s_delay_alu instid0(VALU_DEP_1) | instskip(SKIP_1) | instid1(VALU_DEP_1)
	v_add_f64_e32 v[70:71], v[146:147], v[70:71]
	v_mul_f64_e32 v[146:147], s[34:35], v[92:93]
	v_fma_f64 v[148:149], v[88:89], s[18:19], -v[146:147]
	s_delay_alu instid0(VALU_DEP_1) | instskip(SKIP_1) | instid1(VALU_DEP_1)
	v_add_f64_e32 v[78:79], v[148:149], v[78:79]
	v_mul_f64_e32 v[148:149], s[26:27], v[92:93]
	v_fma_f64 v[150:151], v[88:89], s[2:3], -v[148:149]
	s_delay_alu instid0(VALU_DEP_1) | instskip(SKIP_1) | instid1(VALU_DEP_1)
	v_add_f64_e32 v[90:91], v[150:151], v[90:91]
	v_fma_f64 v[150:151], v[0:1], s[2:3], -v[163:164]
	v_add_f64_e32 v[66:67], v[150:151], v[66:67]
	v_fma_f64 v[150:151], v[0:1], s[12:13], -v[165:166]
	v_add_f64_e64 v[165:166], v[56:57], -v[44:45]
	s_delay_alu instid0(VALU_DEP_2) | instskip(SKIP_1) | instid1(VALU_DEP_3)
	v_add_f64_e32 v[70:71], v[150:151], v[70:71]
	v_mul_f64_e32 v[150:151], s[36:37], v[96:97]
	v_mul_f64_e32 v[56:57], s[20:21], v[165:166]
	s_delay_alu instid0(VALU_DEP_2) | instskip(NEXT) | instid1(VALU_DEP_1)
	v_fma_f64 v[152:153], v[0:1], s[6:7], -v[150:151]
	v_add_f64_e32 v[78:79], v[152:153], v[78:79]
	v_mul_f64_e32 v[152:153], s[22:23], v[96:97]
	s_delay_alu instid0(VALU_DEP_1) | instskip(NEXT) | instid1(VALU_DEP_1)
	v_fma_f64 v[154:155], v[0:1], s[14:15], -v[152:153]
	v_add_f64_e32 v[90:91], v[154:155], v[90:91]
	ds_store_2addr_b64 v191, v[70:71], v[66:67] offset0:8 offset1:9
	ds_store_2addr_b64 v191, v[90:91], v[78:79] offset0:10 offset1:11
	v_fma_f64 v[70:71], v[52:53], s[2:3], v[64:65]
	v_fma_f64 v[66:67], v[52:53], s[16:17], v[86:87]
	v_mul_f64_e32 v[90:91], s[42:43], v[32:33]
	v_add_f64_e32 v[154:155], v[46:47], v[58:59]
	s_delay_alu instid0(VALU_DEP_4) | instskip(SKIP_2) | instid1(VALU_DEP_2)
	v_add_f64_e32 v[70:71], v[70:71], v[72:73]
	v_fma_f64 v[72:73], v[62:63], s[16:17], v[94:95]
	v_add_f64_e32 v[66:67], v[66:67], v[82:83]
	v_add_f64_e32 v[54:55], v[72:73], v[54:55]
	v_fma_f64 v[72:73], v[62:63], s[12:13], v[98:99]
	v_mul_f64_e32 v[98:99], s[36:37], v[165:166]
	s_delay_alu instid0(VALU_DEP_2) | instskip(SKIP_1) | instid1(VALU_DEP_1)
	v_add_f64_e32 v[66:67], v[72:73], v[66:67]
	v_fma_f64 v[72:73], v[62:63], s[18:19], v[68:69]
	v_add_f64_e32 v[70:71], v[72:73], v[70:71]
	v_fma_f64 v[72:73], v[80:81], s[14:15], v[100:101]
	v_add_f64_e32 v[100:101], v[18:19], v[6:7]
	s_delay_alu instid0(VALU_DEP_2) | instskip(SKIP_2) | instid1(VALU_DEP_2)
	v_add_f64_e32 v[54:55], v[72:73], v[54:55]
	v_fma_f64 v[72:73], v[80:81], s[6:7], v[102:103]
	v_mul_f64_e32 v[102:103], s[20:21], v[16:17]
	v_add_f64_e32 v[66:67], v[72:73], v[66:67]
	v_mul_f64_e32 v[72:73], s[20:21], v[84:85]
	v_mul_f64_e32 v[84:85], s[28:29], v[32:33]
	s_delay_alu instid0(VALU_DEP_2) | instskip(NEXT) | instid1(VALU_DEP_1)
	v_fma_f64 v[74:75], v[80:81], s[12:13], v[72:73]
	v_add_f64_e32 v[70:71], v[74:75], v[70:71]
	v_fma_f64 v[74:75], v[88:89], s[18:19], v[146:147]
	v_mul_f64_e32 v[146:147], s[22:23], v[16:17]
	s_delay_alu instid0(VALU_DEP_2) | instskip(SKIP_2) | instid1(VALU_DEP_2)
	v_add_f64_e32 v[54:55], v[74:75], v[54:55]
	v_fma_f64 v[74:75], v[88:89], s[2:3], v[148:149]
	v_add_f64_e32 v[148:149], v[38:39], v[14:15]
	v_add_f64_e32 v[66:67], v[74:75], v[66:67]
	v_mul_f64_e32 v[74:75], s[22:23], v[92:93]
	s_delay_alu instid0(VALU_DEP_1) | instskip(NEXT) | instid1(VALU_DEP_1)
	v_fma_f64 v[76:77], v[88:89], s[14:15], v[74:75]
	v_add_f64_e32 v[70:71], v[76:77], v[70:71]
	v_fma_f64 v[76:77], v[0:1], s[6:7], v[150:151]
	v_add_f64_e32 v[150:151], v[42:43], v[34:35]
	s_delay_alu instid0(VALU_DEP_2) | instskip(SKIP_2) | instid1(VALU_DEP_2)
	v_add_f64_e32 v[54:55], v[76:77], v[54:55]
	v_fma_f64 v[76:77], v[0:1], s[14:15], v[152:153]
	v_add_f64_e32 v[152:153], v[50:51], v[30:31]
	v_add_f64_e32 v[66:67], v[76:77], v[66:67]
	v_mul_f64_e32 v[76:77], s[24:25], v[96:97]
	v_mul_f64_e32 v[96:97], s[22:23], v[165:166]
	s_delay_alu instid0(VALU_DEP_2) | instskip(SKIP_1) | instid1(VALU_DEP_2)
	v_fma_f64 v[78:79], v[0:1], s[16:17], v[76:77]
	v_fma_f64 v[0:1], v[0:1], s[16:17], -v[76:77]
	v_add_f64_e32 v[70:71], v[78:79], v[70:71]
	ds_store_2addr_b64 v191, v[54:55], v[66:67] offset0:2 offset1:3
	ds_store_2addr_b64 v191, v[22:23], v[70:71] offset1:1
	v_fma_f64 v[22:23], v[52:53], s[2:3], -v[64:65]
	v_fma_f64 v[52:53], v[62:63], s[18:19], -v[68:69]
	s_delay_alu instid0(VALU_DEP_2)
	v_add_f64_e32 v[20:21], v[22:23], v[20:21]
	v_fma_f64 v[22:23], v[80:81], s[12:13], -v[72:73]
	v_mul_f64_e32 v[80:81], s[26:27], v[16:17]
	v_mul_f64_e32 v[72:73], s[28:29], v[16:17]
	;; [unrolled: 1-line block ×3, first 2 shown]
	v_add_f64_e32 v[20:21], v[52:53], v[20:21]
	v_fma_f64 v[52:53], v[88:89], s[14:15], -v[74:75]
	s_delay_alu instid0(VALU_DEP_2) | instskip(NEXT) | instid1(VALU_DEP_1)
	v_add_f64_e32 v[20:21], v[22:23], v[20:21]
	v_add_f64_e32 v[20:21], v[52:53], v[20:21]
	;; [unrolled: 1-line block ×3, first 2 shown]
	s_delay_alu instid0(VALU_DEP_2) | instskip(SKIP_2) | instid1(VALU_DEP_1)
	v_add_f64_e32 v[0:1], v[0:1], v[20:21]
	ds_store_b64 v191, v[0:1] offset:96
	v_fma_f64 v[0:1], v[100:101], s[6:7], v[4:5]
	v_add_f64_e32 v[20:21], v[2:3], v[0:1]
	v_mul_f64_e32 v[0:1], s[26:27], v[8:9]
	s_delay_alu instid0(VALU_DEP_1) | instskip(NEXT) | instid1(VALU_DEP_1)
	v_fma_f64 v[22:23], v[52:53], s[2:3], v[0:1]
	v_add_f64_e32 v[20:21], v[22:23], v[20:21]
	v_fma_f64 v[22:23], v[100:101], s[2:3], v[80:81]
	s_delay_alu instid0(VALU_DEP_1) | instskip(SKIP_1) | instid1(VALU_DEP_1)
	v_add_f64_e32 v[24:25], v[2:3], v[22:23]
	v_mul_f64_e32 v[22:23], s[20:21], v[8:9]
	v_fma_f64 v[54:55], v[52:53], s[12:13], v[22:23]
	s_delay_alu instid0(VALU_DEP_1) | instskip(SKIP_1) | instid1(VALU_DEP_1)
	v_add_f64_e32 v[24:25], v[54:55], v[24:25]
	v_fma_f64 v[54:55], v[100:101], s[18:19], v[72:73]
	v_add_f64_e32 v[62:63], v[2:3], v[54:55]
	v_mul_f64_e32 v[54:55], s[24:25], v[8:9]
	s_delay_alu instid0(VALU_DEP_1) | instskip(NEXT) | instid1(VALU_DEP_1)
	v_fma_f64 v[64:65], v[52:53], s[16:17], v[54:55]
	v_add_f64_e32 v[68:69], v[64:65], v[62:63]
	v_fma_f64 v[62:63], v[100:101], s[12:13], v[102:103]
	s_delay_alu instid0(VALU_DEP_1) | instskip(SKIP_1) | instid1(VALU_DEP_1)
	v_add_f64_e32 v[64:65], v[2:3], v[62:63]
	v_mul_f64_e32 v[62:63], s[38:39], v[8:9]
	v_fma_f64 v[66:67], v[52:53], s[14:15], v[62:63]
	s_delay_alu instid0(VALU_DEP_1) | instskip(SKIP_1) | instid1(VALU_DEP_1)
	v_add_f64_e32 v[70:71], v[66:67], v[64:65]
	v_fma_f64 v[64:65], v[100:101], s[14:15], v[146:147]
	v_add_f64_e32 v[66:67], v[2:3], v[64:65]
	v_mul_f64_e32 v[64:65], s[34:35], v[8:9]
	v_mul_f64_e32 v[8:9], s[36:37], v[8:9]
	s_delay_alu instid0(VALU_DEP_2) | instskip(NEXT) | instid1(VALU_DEP_1)
	v_fma_f64 v[74:75], v[52:53], s[18:19], v[64:65]
	v_add_f64_e32 v[76:77], v[74:75], v[66:67]
	v_fma_f64 v[66:67], v[100:101], s[16:17], v[16:17]
	v_fma_f64 v[16:17], v[100:101], s[16:17], -v[16:17]
	v_fma_f64 v[74:75], v[52:53], s[6:7], v[8:9]
	v_fma_f64 v[8:9], v[52:53], s[6:7], -v[8:9]
	s_delay_alu instid0(VALU_DEP_4) | instskip(NEXT) | instid1(VALU_DEP_4)
	v_add_f64_e32 v[66:67], v[2:3], v[66:67]
	v_add_f64_e32 v[16:17], v[2:3], v[16:17]
	s_delay_alu instid0(VALU_DEP_2) | instskip(NEXT) | instid1(VALU_DEP_2)
	v_add_f64_e32 v[78:79], v[74:75], v[66:67]
	v_add_f64_e32 v[8:9], v[8:9], v[16:17]
	v_add_f64_e64 v[16:17], v[12:13], -v[36:37]
	s_delay_alu instid0(VALU_DEP_1)
	v_mul_f64_e32 v[12:13], s[28:29], v[16:17]
	v_mul_f64_e32 v[66:67], s[24:25], v[16:17]
	;; [unrolled: 1-line block ×6, first 2 shown]
	v_fma_f64 v[36:37], v[148:149], s[18:19], v[12:13]
	s_delay_alu instid0(VALU_DEP_1) | instskip(SKIP_1) | instid1(VALU_DEP_1)
	v_add_f64_e32 v[20:21], v[36:37], v[20:21]
	v_fma_f64 v[36:37], v[148:149], s[16:17], v[66:67]
	v_add_f64_e32 v[24:25], v[36:37], v[24:25]
	v_fma_f64 v[36:37], v[148:149], s[12:13], v[74:75]
	s_delay_alu instid0(VALU_DEP_1) | instskip(SKIP_1) | instid1(VALU_DEP_1)
	v_add_f64_e32 v[36:37], v[36:37], v[68:69]
	v_fma_f64 v[68:69], v[148:149], s[6:7], v[82:83]
	v_add_f64_e32 v[70:71], v[68:69], v[70:71]
	v_fma_f64 v[68:69], v[148:149], s[2:3], v[88:89]
	s_delay_alu instid0(VALU_DEP_1) | instskip(SKIP_3) | instid1(VALU_DEP_3)
	v_add_f64_e32 v[86:87], v[68:69], v[76:77]
	v_fma_f64 v[68:69], v[148:149], s[14:15], v[16:17]
	v_fma_f64 v[16:17], v[148:149], s[14:15], -v[16:17]
	v_mul_f64_e32 v[76:77], s[36:37], v[32:33]
	v_add_f64_e32 v[78:79], v[68:69], v[78:79]
	s_delay_alu instid0(VALU_DEP_3) | instskip(SKIP_2) | instid1(VALU_DEP_2)
	v_add_f64_e32 v[8:9], v[16:17], v[8:9]
	v_mul_f64_e32 v[16:17], s[20:21], v[32:33]
	v_mul_f64_e32 v[68:69], s[38:39], v[32:33]
	v_fma_f64 v[40:41], v[150:151], s[12:13], v[16:17]
	s_delay_alu instid0(VALU_DEP_1) | instskip(NEXT) | instid1(VALU_DEP_3)
	v_add_f64_e32 v[40:41], v[40:41], v[20:21]
	v_fma_f64 v[20:21], v[150:151], s[14:15], v[68:69]
	s_delay_alu instid0(VALU_DEP_1) | instskip(SKIP_1) | instid1(VALU_DEP_1)
	v_add_f64_e32 v[24:25], v[20:21], v[24:25]
	v_fma_f64 v[20:21], v[150:151], s[6:7], v[76:77]
	v_add_f64_e32 v[36:37], v[20:21], v[36:37]
	v_fma_f64 v[20:21], v[150:151], s[18:19], v[84:85]
	s_delay_alu instid0(VALU_DEP_1) | instskip(SKIP_2) | instid1(VALU_DEP_2)
	v_add_f64_e32 v[92:93], v[20:21], v[70:71]
	v_fma_f64 v[20:21], v[150:151], s[16:17], v[90:91]
	v_mul_f64_e32 v[70:71], s[34:35], v[28:29]
	v_add_f64_e32 v[94:95], v[20:21], v[86:87]
	v_mul_f64_e32 v[20:21], s[40:41], v[32:33]
	v_mul_f64_e32 v[86:87], s[42:43], v[28:29]
	s_delay_alu instid0(VALU_DEP_2) | instskip(SKIP_1) | instid1(VALU_DEP_2)
	v_fma_f64 v[32:33], v[150:151], s[2:3], v[20:21]
	v_fma_f64 v[20:21], v[150:151], s[2:3], -v[20:21]
	v_add_f64_e32 v[32:33], v[32:33], v[78:79]
	s_delay_alu instid0(VALU_DEP_2) | instskip(SKIP_2) | instid1(VALU_DEP_2)
	v_add_f64_e32 v[8:9], v[20:21], v[8:9]
	v_mul_f64_e32 v[20:21], s[22:23], v[28:29]
	v_mul_f64_e32 v[78:79], s[26:27], v[28:29]
	v_fma_f64 v[48:49], v[152:153], s[14:15], v[20:21]
	s_delay_alu instid0(VALU_DEP_1) | instskip(SKIP_1) | instid1(VALU_DEP_1)
	v_add_f64_e32 v[40:41], v[48:49], v[40:41]
	v_fma_f64 v[48:49], v[152:153], s[18:19], v[70:71]
	v_add_f64_e32 v[24:25], v[48:49], v[24:25]
	v_fma_f64 v[48:49], v[152:153], s[2:3], v[78:79]
	s_delay_alu instid0(VALU_DEP_1) | instskip(SKIP_1) | instid1(VALU_DEP_1)
	v_add_f64_e32 v[36:37], v[48:49], v[36:37]
	v_fma_f64 v[48:49], v[152:153], s[16:17], v[86:87]
	v_add_f64_e32 v[159:160], v[48:49], v[92:93]
	v_mul_f64_e32 v[92:93], s[36:37], v[28:29]
	v_mul_f64_e32 v[28:29], s[20:21], v[28:29]
	s_delay_alu instid0(VALU_DEP_2) | instskip(NEXT) | instid1(VALU_DEP_1)
	v_fma_f64 v[48:49], v[152:153], s[6:7], v[92:93]
	v_add_f64_e32 v[161:162], v[48:49], v[94:95]
	s_delay_alu instid0(VALU_DEP_3) | instskip(SKIP_2) | instid1(VALU_DEP_3)
	v_fma_f64 v[48:49], v[152:153], s[12:13], v[28:29]
	v_fma_f64 v[28:29], v[152:153], s[12:13], -v[28:29]
	v_mul_f64_e32 v[94:95], s[40:41], v[165:166]
	v_add_f64_e32 v[32:33], v[48:49], v[32:33]
	s_delay_alu instid0(VALU_DEP_3) | instskip(SKIP_1) | instid1(VALU_DEP_1)
	v_add_f64_e32 v[163:164], v[28:29], v[8:9]
	v_mul_f64_e32 v[8:9], s[24:25], v[165:166]
	v_fma_f64 v[28:29], v[154:155], s[16:17], v[8:9]
	s_delay_alu instid0(VALU_DEP_1) | instskip(SKIP_1) | instid1(VALU_DEP_1)
	v_add_f64_e32 v[28:29], v[28:29], v[40:41]
	v_fma_f64 v[40:41], v[154:155], s[6:7], v[98:99]
	v_add_f64_e32 v[40:41], v[40:41], v[24:25]
	v_fma_f64 v[24:25], v[154:155], s[14:15], v[96:97]
	s_delay_alu instid0(VALU_DEP_1) | instskip(SKIP_1) | instid1(VALU_DEP_1)
	v_add_f64_e32 v[48:49], v[24:25], v[36:37]
	v_fma_f64 v[24:25], v[154:155], s[2:3], v[94:95]
	v_add_f64_e32 v[36:37], v[24:25], v[159:160]
	v_fma_f64 v[24:25], v[154:155], s[12:13], v[56:57]
	s_delay_alu instid0(VALU_DEP_1) | instskip(SKIP_1) | instid1(VALU_DEP_1)
	v_add_f64_e32 v[44:45], v[24:25], v[161:162]
	v_mul_f64_e32 v[24:25], s[34:35], v[165:166]
	v_fma_f64 v[159:160], v[154:155], s[18:19], v[24:25]
	v_fma_f64 v[24:25], v[154:155], s[18:19], -v[24:25]
	s_delay_alu instid0(VALU_DEP_2) | instskip(NEXT) | instid1(VALU_DEP_2)
	v_add_f64_e32 v[32:33], v[159:160], v[32:33]
	v_add_f64_e32 v[24:25], v[24:25], v[163:164]
	v_add_nc_u32_e32 v159, 0x5b, v190
	s_and_saveexec_b32 s20, s1
	s_cbranch_execz .LBB0_19
; %bb.18:
	v_add_f64_e32 v[6:7], v[6:7], v[2:3]
	v_mul_f64_e32 v[160:161], s[18:19], v[100:101]
	v_mul_f64_e32 v[164:165], s[14:15], v[52:53]
	;; [unrolled: 1-line block ×4, first 2 shown]
	v_add_f64_e32 v[6:7], v[10:11], v[6:7]
	v_mul_f64_e32 v[10:11], s[2:3], v[100:101]
	v_add_f64_e64 v[72:73], v[160:161], -v[72:73]
	v_add_f64_e64 v[62:63], v[164:165], -v[62:63]
	;; [unrolled: 1-line block ×4, first 2 shown]
	v_add_f64_e32 v[6:7], v[14:15], v[6:7]
	v_mul_f64_e32 v[14:15], s[12:13], v[100:101]
	v_add_f64_e64 v[10:11], v[10:11], -v[80:81]
	v_mul_f64_e32 v[80:81], s[12:13], v[148:149]
	v_add_f64_e32 v[72:73], v[2:3], v[72:73]
	v_add_f64_e32 v[6:7], v[34:35], v[6:7]
	v_mul_f64_e32 v[34:35], s[14:15], v[100:101]
	v_add_f64_e64 v[14:15], v[14:15], -v[102:103]
	v_mul_f64_e32 v[102:103], s[6:7], v[148:149]
	v_add_f64_e32 v[10:11], v[2:3], v[10:11]
	v_add_f64_e32 v[6:7], v[30:31], v[6:7]
	v_mul_f64_e32 v[30:31], s[6:7], v[100:101]
	v_mul_f64_e32 v[100:101], s[12:13], v[52:53]
	v_add_f64_e64 v[34:35], v[34:35], -v[146:147]
	v_mul_f64_e32 v[52:53], s[2:3], v[52:53]
	v_mul_f64_e32 v[146:147], s[2:3], v[148:149]
	v_add_f64_e32 v[14:15], v[2:3], v[14:15]
	v_add_f64_e32 v[6:7], v[58:59], v[6:7]
	v_add_f64_e64 v[4:5], v[30:31], -v[4:5]
	v_mul_f64_e32 v[58:59], s[16:17], v[148:149]
	v_add_f64_e64 v[22:23], v[100:101], -v[22:23]
	v_add_f64_e32 v[34:35], v[2:3], v[34:35]
	v_mul_f64_e32 v[30:31], s[18:19], v[148:149]
	v_add_f64_e64 v[0:1], v[52:53], -v[0:1]
	v_mul_f64_e32 v[100:101], s[18:19], v[150:151]
	v_mul_f64_e32 v[148:149], s[16:17], v[150:151]
	v_add_f64_e32 v[14:15], v[62:63], v[14:15]
	v_mul_f64_e32 v[52:53], s[6:7], v[150:151]
	v_mul_f64_e32 v[62:63], s[6:7], v[152:153]
	v_add_f64_e32 v[6:7], v[46:47], v[6:7]
	v_add_f64_e32 v[2:3], v[2:3], v[4:5]
	v_mul_f64_e32 v[46:47], s[14:15], v[150:151]
	v_add_f64_e64 v[58:59], v[58:59], -v[66:67]
	v_add_f64_e64 v[66:67], v[80:81], -v[74:75]
	;; [unrolled: 1-line block ×4, first 2 shown]
	v_add_f64_e32 v[10:11], v[22:23], v[10:11]
	v_add_f64_e32 v[22:23], v[64:65], v[34:35]
	;; [unrolled: 1-line block ×3, first 2 shown]
	v_mul_f64_e32 v[4:5], s[12:13], v[150:151]
	v_add_f64_e64 v[12:13], v[30:31], -v[12:13]
	v_mul_f64_e32 v[30:31], s[18:19], v[152:153]
	v_mul_f64_e32 v[54:55], s[16:17], v[152:153]
	v_add_f64_e64 v[64:65], v[100:101], -v[84:85]
	v_add_f64_e64 v[52:53], v[52:53], -v[76:77]
	v_add_f64_e64 v[62:63], v[62:63], -v[92:93]
	v_add_f64_e32 v[6:7], v[50:51], v[6:7]
	v_add_f64_e32 v[0:1], v[0:1], v[2:3]
	v_add_f64_e64 v[46:47], v[46:47], -v[68:69]
	v_add_f64_e64 v[68:69], v[148:149], -v[90:91]
	v_mul_f64_e32 v[50:51], s[2:3], v[152:153]
	v_add_f64_e32 v[14:15], v[74:75], v[14:15]
	v_mul_f64_e32 v[2:3], s[14:15], v[152:153]
	v_add_f64_e32 v[10:11], v[58:59], v[10:11]
	v_add_f64_e32 v[22:23], v[80:81], v[22:23]
	;; [unrolled: 1-line block ×3, first 2 shown]
	v_add_f64_e64 v[4:5], v[4:5], -v[16:17]
	v_mul_f64_e32 v[16:17], s[6:7], v[154:155]
	v_mul_f64_e32 v[58:59], s[2:3], v[154:155]
	v_mul_f64_e32 v[66:67], s[12:13], v[154:155]
	v_add_f64_e64 v[30:31], v[30:31], -v[70:71]
	v_add_f64_e64 v[54:55], v[54:55], -v[86:87]
	v_add_f64_e32 v[6:7], v[42:43], v[6:7]
	v_add_f64_e32 v[0:1], v[12:13], v[0:1]
	v_mul_f64_e32 v[42:43], s[14:15], v[154:155]
	v_mul_f64_e32 v[12:13], s[16:17], v[154:155]
	v_add_f64_e64 v[50:51], v[50:51], -v[78:79]
	v_add_f64_e32 v[14:15], v[64:65], v[14:15]
	v_add_f64_e64 v[2:3], v[2:3], -v[20:21]
	v_add_f64_e32 v[10:11], v[46:47], v[10:11]
	v_add_f64_e32 v[22:23], v[68:69], v[22:23]
	;; [unrolled: 1-line block ×3, first 2 shown]
	v_add_f64_e64 v[20:21], v[58:59], -v[94:95]
	v_add_f64_e32 v[6:7], v[38:39], v[6:7]
	v_add_f64_e32 v[0:1], v[4:5], v[0:1]
	v_add_f64_e64 v[4:5], v[16:17], -v[98:99]
	v_add_f64_e64 v[38:39], v[66:67], -v[56:57]
	;; [unrolled: 1-line block ×3, first 2 shown]
	v_add_f64_e32 v[14:15], v[54:55], v[14:15]
	v_add_f64_e64 v[8:9], v[12:13], -v[8:9]
	v_add_f64_e32 v[10:11], v[30:31], v[10:11]
	v_add_f64_e32 v[22:23], v[62:63], v[22:23]
	;; [unrolled: 1-line block ×11, first 2 shown]
	v_mul_u32_u24_e32 v8, 0x68, v159
	s_delay_alu instid0(VALU_DEP_1)
	v_add3_u32 v8, 0, v8, v158
	ds_store_2addr_b64 v8, v[36:37], v[44:45] offset0:4 offset1:5
	ds_store_2addr_b64 v8, v[32:33], v[24:25] offset0:6 offset1:7
	;; [unrolled: 1-line block ×4, first 2 shown]
	ds_store_2addr_b64 v8, v[6:7], v[28:29] offset1:1
	ds_store_2addr_b64 v8, v[40:41], v[48:49] offset0:2 offset1:3
	ds_store_b64 v8, v[0:1] offset:96
.LBB0_19:
	s_wait_alu 0xfffe
	s_or_b32 exec_lo, exec_lo, s20
	v_add_nc_u32_e32 v4, 0x800, v157
	v_add_nc_u32_e32 v5, 0xc00, v157
	;; [unrolled: 1-line block ×5, first 2 shown]
	global_wb scope:SCOPE_SE
	s_wait_dscnt 0x0
	s_barrier_signal -1
	s_barrier_wait -1
	global_inv scope:SCOPE_SE
	ds_load_2addr_b64 v[0:3], v157 offset0:91 offset1:195
	ds_load_2addr_b64 v[16:19], v4 offset0:30 offset1:134
	;; [unrolled: 1-line block ×6, first 2 shown]
	ds_load_b64 v[26:27], v156
	ds_load_b64 v[58:59], v157 offset:10088
	s_and_saveexec_b32 s1, s0
	s_cbranch_execz .LBB0_21
; %bb.20:
	v_add_nc_u32_e32 v24, 0x1e00, v157
	v_add_nc_u32_e32 v25, 0x1000, v157
	;; [unrolled: 1-line block ×3, first 2 shown]
	ds_load_2addr_b64 v[28:31], v24 offset0:2 offset1:197
	ds_load_2addr_b64 v[34:37], v25 offset0:60 offset1:255
	;; [unrolled: 1-line block ×3, first 2 shown]
	ds_load_b64 v[24:25], v157 offset:10816
	s_wait_dscnt 0x3
	v_mov_b32_e32 v45, v29
	v_dual_mov_b32 v33, v31 :: v_dual_mov_b32 v44, v28
	s_wait_dscnt 0x1
	v_dual_mov_b32 v49, v35 :: v_dual_mov_b32 v28, v38
	v_mov_b32_e32 v32, v30
	v_dual_mov_b32 v48, v34 :: v_dual_mov_b32 v29, v39
.LBB0_21:
	s_wait_alu 0xfffe
	s_or_b32 exec_lo, exec_lo, s1
	v_and_b32_e32 v30, 0xff, v190
	v_and_b32_e32 v31, 0xff, v159
	v_add_nc_u32_e32 v82, 0xb6, v190
	s_mov_b32 s14, 0x37e14327
	s_mov_b32 s6, 0x36b3c0b5
	v_mul_lo_u16 v30, 0x4f, v30
	s_mov_b32 s16, 0xe976ee23
	v_and_b32_e32 v83, 0xffff, v82
	s_mov_b32 s2, 0x429ad128
	s_mov_b32 s15, 0x3fe948f6
	v_lshrrev_b16 v195, 10, v30
	v_mul_lo_u16 v30, 0x4f, v31
	s_mov_b32 s7, 0x3fac98ee
	s_mov_b32 s17, 0xbfe11646
	;; [unrolled: 1-line block ×3, first 2 shown]
	v_mul_lo_u16 v31, v195, 13
	v_lshrrev_b16 v196, 10, v30
	s_mov_b32 s18, 0xaaaaaaaa
	s_mov_b32 s12, 0x5476071b
	;; [unrolled: 1-line block ×3, first 2 shown]
	v_sub_nc_u16 v30, v190, v31
	v_mul_lo_u16 v31, v196, 13
	s_mov_b32 s19, 0xbff2aaaa
	s_mov_b32 s13, 0x3fe77f67
	;; [unrolled: 1-line block ×3, first 2 shown]
	v_and_b32_e32 v197, 0xff, v30
	v_sub_nc_u16 v30, v159, v31
	s_mov_b32 s25, 0x3fd5d0dc
	s_mov_b32 s23, 0xbfd5d0dc
	s_wait_alu 0xfffe
	s_mov_b32 s20, s12
	v_mul_u32_u24_e32 v31, 6, v197
	v_and_b32_e32 v198, 0xff, v30
	s_mov_b32 s22, s24
	s_mov_b32 s26, 0x37c3f68c
	;; [unrolled: 1-line block ×3, first 2 shown]
	v_lshlrev_b32_e32 v30, 4, v31
	v_mul_u32_u24_e32 v31, 6, v198
	s_clause 0x1
	global_load_b128 v[62:65], v30, s[4:5] offset:16
	global_load_b128 v[66:69], v30, s[4:5]
	v_lshlrev_b32_e32 v31, 4, v31
	s_clause 0x9
	global_load_b128 v[70:73], v30, s[4:5] offset:80
	global_load_b128 v[74:77], v30, s[4:5] offset:64
	global_load_b128 v[78:81], v31, s[4:5]
	global_load_b128 v[84:87], v31, s[4:5] offset:16
	global_load_b128 v[88:91], v31, s[4:5] offset:80
	global_load_b128 v[92:95], v31, s[4:5] offset:64
	global_load_b128 v[96:99], v30, s[4:5] offset:32
	global_load_b128 v[100:103], v30, s[4:5] offset:48
	global_load_b128 v[146:149], v31, s[4:5] offset:32
	global_load_b128 v[150:153], v31, s[4:5] offset:48
	v_mul_u32_u24_e32 v30, 0x4ec5, v83
	s_delay_alu instid0(VALU_DEP_1) | instskip(NEXT) | instid1(VALU_DEP_1)
	v_lshrrev_b32_e32 v30, 18, v30
	v_mul_lo_u16 v30, v30, 13
	s_delay_alu instid0(VALU_DEP_1) | instskip(NEXT) | instid1(VALU_DEP_1)
	v_sub_nc_u16 v30, v82, v30
	v_and_b32_e32 v199, 0xffff, v30
	s_delay_alu instid0(VALU_DEP_1) | instskip(NEXT) | instid1(VALU_DEP_1)
	v_mul_u32_u24_e32 v30, 6, v199
	v_lshlrev_b32_e32 v30, 4, v30
	s_clause 0x5
	global_load_b128 v[160:163], v30, s[4:5]
	global_load_b128 v[164:167], v30, s[4:5] offset:16
	global_load_b128 v[168:171], v30, s[4:5] offset:32
	;; [unrolled: 1-line block ×5, first 2 shown]
	global_wb scope:SCOPE_SE
	s_wait_loadcnt_dscnt 0x0
	s_barrier_signal -1
	s_barrier_wait -1
	global_inv scope:SCOPE_SE
	v_mul_f64_e32 v[38:39], v[10:11], v[72:73]
	v_mul_f64_e32 v[46:47], v[6:7], v[76:77]
	;; [unrolled: 1-line block ×24, first 2 shown]
	v_fma_f64 v[38:39], v[126:127], v[70:71], -v[38:39]
	v_fma_f64 v[50:51], v[110:111], v[74:75], -v[46:47]
	;; [unrolled: 1-line block ×8, first 2 shown]
	v_fma_f64 v[64:65], v[2:3], v[66:67], v[68:69]
	v_fma_f64 v[62:63], v[18:19], v[62:63], v[184:185]
	v_fma_f64 v[2:3], v[118:119], v[96:97], -v[186:187]
	v_fma_f64 v[22:23], v[22:23], v[96:97], v[98:99]
	v_fma_f64 v[18:19], v[114:115], v[100:101], -v[188:189]
	v_fma_f64 v[14:15], v[14:15], v[100:101], v[102:103]
	v_fma_f64 v[66:67], v[6:7], v[74:75], v[76:77]
	;; [unrolled: 1-line block ×5, first 2 shown]
	v_fma_f64 v[6:7], v[112:113], v[146:147], -v[191:192]
	v_fma_f64 v[10:11], v[12:13], v[146:147], v[148:149]
	v_fma_f64 v[12:13], v[8:9], v[92:93], v[94:95]
	v_fma_f64 v[8:9], v[108:109], v[150:151], -v[193:194]
	v_fma_f64 v[4:5], v[4:5], v[150:151], v[152:153]
	v_fma_f64 v[20:21], v[58:59], v[88:89], v[90:91]
	v_mul_f64_e32 v[118:119], v[44:45], v[174:175]
	v_mul_f64_e32 v[120:121], v[134:135], v[174:175]
	;; [unrolled: 1-line block ×5, first 2 shown]
	v_add_f64_e32 v[72:73], v[42:43], v[50:51]
	v_add_f64_e32 v[70:71], v[30:31], v[38:39]
	v_add_f64_e32 v[58:59], v[34:35], v[46:47]
	v_add_f64_e32 v[74:75], v[52:53], v[54:55]
	v_add_f64_e32 v[76:77], v[2:3], v[18:19]
	v_add_f64_e64 v[80:81], v[14:15], -v[22:23]
	v_add_f64_e64 v[78:79], v[62:63], -v[66:67]
	;; [unrolled: 1-line block ×4, first 2 shown]
	v_add_f64_e32 v[90:91], v[6:7], v[8:9]
	v_add_f64_e64 v[92:93], v[4:5], -v[10:11]
	v_add_f64_e64 v[94:95], v[56:57], -v[20:21]
	v_fma_f64 v[44:45], v[44:45], v[172:173], v[120:121]
	v_add_f64_e32 v[86:87], v[72:73], v[70:71]
	v_add_f64_e32 v[96:97], v[74:75], v[58:59]
	v_add_f64_e64 v[98:99], v[70:71], -v[76:77]
	v_add_f64_e64 v[100:101], v[76:77], -v[72:73]
	;; [unrolled: 1-line block ×5, first 2 shown]
	v_add_f64_e32 v[72:73], v[80:81], v[78:79]
	v_add_f64_e64 v[78:79], v[84:85], -v[80:81]
	v_add_f64_e64 v[108:109], v[92:93], -v[88:89]
	;; [unrolled: 1-line block ×3, first 2 shown]
	v_add_f64_e32 v[80:81], v[92:93], v[88:89]
	v_add_f64_e64 v[92:93], v[94:95], -v[92:93]
	v_add_f64_e32 v[76:77], v[76:77], v[86:87]
	v_add_f64_e64 v[86:87], v[58:59], -v[90:91]
	v_add_f64_e64 v[58:59], v[74:75], -v[58:59]
	v_add_f64_e32 v[96:97], v[90:91], v[96:97]
	v_add_f64_e64 v[90:91], v[90:91], -v[74:75]
	v_mul_f64_e32 v[88:89], s[14:15], v[98:99]
	v_mul_f64_e32 v[98:99], s[6:7], v[100:101]
	;; [unrolled: 1-line block ×4, first 2 shown]
	v_add_f64_e32 v[72:73], v[72:73], v[84:85]
	v_mul_f64_e32 v[108:109], s[16:17], v[108:109]
	v_mul_f64_e32 v[116:117], s[2:3], v[110:111]
	v_add_f64_e32 v[80:81], v[80:81], v[94:95]
	v_add_f64_e32 v[114:115], v[142:143], v[76:77]
	v_mul_f64_e32 v[86:87], s[14:15], v[86:87]
	v_add_f64_e32 v[104:105], v[104:105], v[96:97]
	v_mul_f64_e32 v[74:75], s[6:7], v[90:91]
	v_fma_f64 v[84:85], v[100:101], s[6:7], v[88:89]
	v_fma_f64 v[94:95], v[70:71], s[12:13], -v[98:99]
	v_fma_f64 v[98:99], v[78:79], s[24:25], v[102:103]
	v_fma_f64 v[100:101], v[106:107], s[2:3], -v[102:103]
	s_wait_alu 0xfffe
	v_fma_f64 v[70:71], v[70:71], s[20:21], -v[88:89]
	v_fma_f64 v[78:79], v[78:79], s[22:23], -v[112:113]
	v_mul_f64_e32 v[106:107], v[140:141], v[162:163]
	v_mul_f64_e32 v[112:113], v[36:37], v[170:171]
	v_fma_f64 v[102:103], v[110:111], s[2:3], -v[108:109]
	v_mul_f64_e32 v[110:111], v[138:139], v[166:167]
	v_fma_f64 v[76:77], v[76:77], s[18:19], v[114:115]
	v_fma_f64 v[88:89], v[90:91], s[6:7], v[86:87]
	;; [unrolled: 1-line block ×3, first 2 shown]
	v_fma_f64 v[92:93], v[92:93], s[22:23], -v[116:117]
	v_fma_f64 v[96:97], v[96:97], s[18:19], v[104:105]
	v_fma_f64 v[86:87], v[58:59], s[20:21], -v[86:87]
	v_fma_f64 v[58:59], v[58:59], s[12:13], -v[74:75]
	v_mul_f64_e32 v[74:75], v[40:41], v[162:163]
	v_mul_f64_e32 v[108:109], v[48:49], v[166:167]
	;; [unrolled: 1-line block ×3, first 2 shown]
	v_fma_f64 v[98:99], v[72:73], s[26:27], v[98:99]
	v_fma_f64 v[100:101], v[72:73], s[26:27], v[100:101]
	;; [unrolled: 1-line block ×4, first 2 shown]
	v_fma_f64 v[32:33], v[130:131], v[180:181], -v[126:127]
	v_fma_f64 v[102:103], v[80:81], s[26:27], v[102:103]
	v_fma_f64 v[72:73], v[48:49], v[164:165], v[110:111]
	v_fma_f64 v[48:49], v[136:137], v[168:169], -v[112:113]
	v_add_f64_e32 v[84:85], v[84:85], v[76:77]
	v_add_f64_e32 v[144:145], v[70:71], v[76:77]
	v_fma_f64 v[90:91], v[80:81], s[26:27], v[90:91]
	v_fma_f64 v[80:81], v[80:81], s[26:27], v[92:93]
	v_add_f64_e32 v[88:89], v[88:89], v[96:97]
	v_add_f64_e32 v[86:87], v[86:87], v[96:97]
	;; [unrolled: 1-line block ×3, first 2 shown]
	v_mul_f64_e32 v[96:97], v[130:131], v[182:183]
	v_add_f64_e32 v[94:95], v[94:95], v[76:77]
	v_fma_f64 v[58:59], v[140:141], v[160:161], -v[74:75]
	v_fma_f64 v[70:71], v[40:41], v[160:161], v[106:107]
	v_fma_f64 v[40:41], v[138:139], v[164:165], -v[108:109]
	v_fma_f64 v[74:75], v[36:37], v[168:169], v[116:117]
	v_fma_f64 v[36:37], v[134:135], v[172:173], -v[118:119]
	v_fma_f64 v[76:77], v[132:133], v[176:177], -v[122:123]
	v_add_f64_e32 v[106:107], v[98:99], v[84:85]
	v_add_f64_e32 v[108:109], v[142:143], v[144:145]
	v_add_f64_e64 v[98:99], v[84:85], -v[98:99]
	v_lshlrev_b32_e32 v84, 3, v197
	v_add_f64_e32 v[112:113], v[90:91], v[88:89]
	v_add_f64_e32 v[116:117], v[80:81], v[86:87]
	v_add_f64_e64 v[118:119], v[92:93], -v[102:103]
	v_add_f64_e32 v[92:93], v[102:103], v[92:93]
	v_add_f64_e64 v[102:103], v[86:87], -v[80:81]
	v_fma_f64 v[80:81], v[24:25], v[180:181], v[96:97]
	v_add_f64_e64 v[110:111], v[94:95], -v[100:101]
	v_add_f64_e32 v[94:95], v[100:101], v[94:95]
	v_add_f64_e64 v[100:101], v[144:145], -v[142:143]
	v_add_f64_e64 v[87:88], v[88:89], -v[90:91]
	v_and_b32_e32 v24, 0xffff, v195
	v_and_b32_e32 v25, 0xffff, v196
	v_lshlrev_b32_e32 v85, 3, v198
	s_delay_alu instid0(VALU_DEP_3) | instskip(NEXT) | instid1(VALU_DEP_3)
	v_mad_u32_u24 v24, 0x2d8, v24, 0
	v_mad_u32_u24 v25, 0x2d8, v25, 0
	s_delay_alu instid0(VALU_DEP_2) | instskip(NEXT) | instid1(VALU_DEP_2)
	v_add3_u32 v86, v24, v84, v158
	v_add3_u32 v85, v25, v85, v158
	v_lshlrev_b32_e32 v84, 3, v199
	ds_store_2addr_b64 v86, v[114:115], v[106:107] offset1:13
	ds_store_2addr_b64 v86, v[108:109], v[110:111] offset0:26 offset1:39
	ds_store_2addr_b64 v86, v[94:95], v[100:101] offset0:52 offset1:65
	ds_store_b64 v86, v[98:99] offset:624
	ds_store_2addr_b64 v85, v[104:105], v[112:113] offset1:13
	ds_store_2addr_b64 v85, v[116:117], v[118:119] offset0:26 offset1:39
	ds_store_2addr_b64 v85, v[92:93], v[102:103] offset0:52 offset1:65
	ds_store_b64 v85, v[87:88] offset:624
	s_and_saveexec_b32 s1, s0
	s_cbranch_execz .LBB0_23
; %bb.22:
	v_add_f64_e32 v[24:25], v[40:41], v[76:77]
	v_add_f64_e32 v[87:88], v[58:59], v[32:33]
	v_add_f64_e64 v[89:90], v[44:45], -v[74:75]
	v_add_f64_e64 v[91:92], v[72:73], -v[78:79]
	v_add_f64_e32 v[93:94], v[48:49], v[36:37]
	v_add_f64_e64 v[95:96], v[70:71], -v[80:81]
	v_add_f64_e32 v[97:98], v[24:25], v[87:88]
	s_delay_alu instid0(VALU_DEP_4) | instskip(NEXT) | instid1(VALU_DEP_4)
	v_add_f64_e64 v[99:100], v[89:90], -v[91:92]
	v_add_f64_e64 v[101:102], v[87:88], -v[93:94]
	s_delay_alu instid0(VALU_DEP_4)
	v_add_f64_e64 v[103:104], v[91:92], -v[95:96]
	v_add_f64_e32 v[91:92], v[89:90], v[91:92]
	v_add_f64_e64 v[89:90], v[95:96], -v[89:90]
	v_add_f64_e32 v[97:98], v[93:94], v[97:98]
	v_add_f64_e64 v[93:94], v[93:94], -v[24:25]
	v_add_f64_e64 v[24:25], v[24:25], -v[87:88]
	v_mul_f64_e32 v[87:88], s[16:17], v[99:100]
	v_mul_f64_e32 v[99:100], s[14:15], v[101:102]
	v_mul_f64_e32 v[101:102], s[2:3], v[103:104]
	v_add_f64_e32 v[91:92], v[91:92], v[95:96]
	v_add_f64_e32 v[60:61], v[60:61], v[97:98]
	v_mul_f64_e32 v[105:106], s[6:7], v[93:94]
	v_fma_f64 v[95:96], v[89:90], s[24:25], v[87:88]
	v_fma_f64 v[93:94], v[93:94], s[6:7], v[99:100]
	v_fma_f64 v[107:108], v[24:25], s[20:21], -v[99:100]
	v_fma_f64 v[89:90], v[89:90], s[22:23], -v[101:102]
	;; [unrolled: 1-line block ×3, first 2 shown]
	v_fma_f64 v[97:98], v[97:98], s[18:19], v[60:61]
	v_fma_f64 v[24:25], v[24:25], s[12:13], -v[105:106]
	v_fma_f64 v[95:96], v[91:92], s[26:27], v[95:96]
	v_fma_f64 v[89:90], v[91:92], s[26:27], v[89:90]
	;; [unrolled: 1-line block ×3, first 2 shown]
	v_add_f64_e32 v[93:94], v[93:94], v[97:98]
	v_add_f64_e32 v[91:92], v[107:108], v[97:98]
	;; [unrolled: 1-line block ×3, first 2 shown]
	s_delay_alu instid0(VALU_DEP_3) | instskip(NEXT) | instid1(VALU_DEP_3)
	v_add_f64_e32 v[101:102], v[95:96], v[93:94]
	v_add_f64_e64 v[97:98], v[91:92], -v[89:90]
	s_delay_alu instid0(VALU_DEP_3) | instskip(SKIP_4) | instid1(VALU_DEP_1)
	v_add_f64_e64 v[99:100], v[24:25], -v[87:88]
	v_add_f64_e32 v[89:90], v[89:90], v[91:92]
	v_add_f64_e32 v[24:25], v[87:88], v[24:25]
	v_add_f64_e64 v[87:88], v[93:94], -v[95:96]
	v_add3_u32 v91, 0, v84, v158
	v_add_nc_u32_e32 v92, 0x2400, v91
	v_add_nc_u32_e32 v93, 0x2800, v91
	ds_store_2addr_b64 v92, v[60:61], v[101:102] offset0:122 offset1:135
	ds_store_2addr_b64 v93, v[89:90], v[99:100] offset0:20 offset1:33
	;; [unrolled: 1-line block ×3, first 2 shown]
	ds_store_b64 v91, v[87:88] offset:10816
.LBB0_23:
	s_wait_alu 0xfffe
	s_or_b32 exec_lo, exec_lo, s1
	v_add_f64_e32 v[24:25], v[64:65], v[68:69]
	v_add_f64_e32 v[60:61], v[62:63], v[66:67]
	;; [unrolled: 1-line block ×5, first 2 shown]
	v_add_f64_e64 v[16:17], v[42:43], -v[50:51]
	v_add_f64_e64 v[2:3], v[18:19], -v[2:3]
	;; [unrolled: 1-line block ×4, first 2 shown]
	v_add_f64_e32 v[4:5], v[10:11], v[4:5]
	v_add_f64_e64 v[6:7], v[8:9], -v[6:7]
	v_add_f64_e64 v[8:9], v[34:35], -v[46:47]
	global_wb scope:SCOPE_SE
	s_wait_dscnt 0x0
	s_barrier_signal -1
	s_barrier_wait -1
	global_inv scope:SCOPE_SE
	v_add_f64_e32 v[22:23], v[60:61], v[24:25]
	v_add_f64_e32 v[10:11], v[12:13], v[20:21]
	v_add_f64_e64 v[34:35], v[24:25], -v[14:15]
	v_add_f64_e64 v[38:39], v[14:15], -v[60:61]
	;; [unrolled: 1-line block ×5, first 2 shown]
	v_add_f64_e32 v[16:17], v[2:3], v[16:17]
	v_add_f64_e64 v[50:51], v[6:7], -v[30:31]
	v_add_f64_e64 v[52:53], v[30:31], -v[8:9]
	;; [unrolled: 1-line block ×3, first 2 shown]
	v_add_f64_e32 v[30:31], v[6:7], v[30:31]
	v_add_f64_e64 v[6:7], v[8:9], -v[6:7]
	v_add_f64_e32 v[14:15], v[14:15], v[22:23]
	v_add_f64_e64 v[22:23], v[20:21], -v[4:5]
	;; [unrolled: 2-line block ×3, first 2 shown]
	v_mul_f64_e32 v[34:35], s[14:15], v[34:35]
	v_mul_f64_e32 v[42:43], s[16:17], v[42:43]
	v_mul_f64_e32 v[56:57], s[2:3], v[46:47]
	v_mul_f64_e32 v[54:55], s[6:7], v[38:39]
	v_add_f64_e32 v[16:17], v[16:17], v[18:19]
	v_add_f64_e32 v[8:9], v[30:31], v[8:9]
	;; [unrolled: 1-line block ×3, first 2 shown]
	v_mul_f64_e32 v[22:23], s[14:15], v[22:23]
	v_mul_f64_e32 v[26:27], s[16:17], v[50:51]
	v_add_f64_e32 v[62:63], v[0:1], v[10:11]
	v_mul_f64_e32 v[50:51], s[2:3], v[52:53]
	v_add_f64_e64 v[0:1], v[12:13], -v[20:21]
	v_mul_f64_e32 v[12:13], s[6:7], v[4:5]
	v_fma_f64 v[18:19], v[38:39], s[6:7], v[34:35]
	v_fma_f64 v[30:31], v[2:3], s[24:25], v[42:43]
	v_fma_f64 v[38:39], v[46:47], s[2:3], -v[42:43]
	v_fma_f64 v[2:3], v[2:3], s[22:23], -v[56:57]
	;; [unrolled: 1-line block ×4, first 2 shown]
	v_add_nc_u32_e32 v42, 0x1c00, v157
	v_add_nc_u32_e32 v43, 0x2000, v157
	v_fma_f64 v[14:15], v[14:15], s[18:19], v[60:61]
	v_fma_f64 v[4:5], v[4:5], s[6:7], v[22:23]
	;; [unrolled: 1-line block ×4, first 2 shown]
	v_fma_f64 v[26:27], v[52:53], s[2:3], -v[26:27]
	v_fma_f64 v[6:7], v[6:7], s[22:23], -v[50:51]
	;; [unrolled: 1-line block ×4, first 2 shown]
	v_fma_f64 v[12:13], v[16:17], s[26:27], v[30:31]
	v_fma_f64 v[30:31], v[16:17], s[26:27], v[38:39]
	;; [unrolled: 1-line block ×3, first 2 shown]
	v_add_nc_u32_e32 v38, 0xc00, v157
	v_add_nc_u32_e32 v39, 0x1800, v157
	v_add_f64_e32 v[16:17], v[18:19], v[14:15]
	v_add_f64_e32 v[18:19], v[24:25], v[14:15]
	;; [unrolled: 1-line block ×3, first 2 shown]
	v_fma_f64 v[20:21], v[8:9], s[26:27], v[34:35]
	v_add_f64_e32 v[4:5], v[4:5], v[10:11]
	v_fma_f64 v[24:25], v[8:9], s[26:27], v[26:27]
	v_fma_f64 v[6:7], v[8:9], s[26:27], v[6:7]
	v_add_f64_e32 v[8:9], v[22:23], v[10:11]
	v_add_f64_e32 v[0:1], v[0:1], v[10:11]
	v_add_nc_u32_e32 v34, 0x800, v157
	v_add_nc_u32_e32 v35, 0x1000, v157
	v_add_f64_e64 v[46:47], v[16:17], -v[12:13]
	v_add_f64_e64 v[50:51], v[18:19], -v[2:3]
	v_add_f64_e32 v[52:53], v[30:31], v[14:15]
	v_add_f64_e64 v[54:55], v[14:15], -v[30:31]
	v_add_f64_e32 v[56:57], v[2:3], v[18:19]
	v_add_f64_e32 v[64:65], v[12:13], v[16:17]
	v_add_f64_e64 v[66:67], v[4:5], -v[20:21]
	v_add_f64_e64 v[68:69], v[8:9], -v[6:7]
	v_add_f64_e32 v[87:88], v[24:25], v[0:1]
	v_add_f64_e64 v[89:90], v[0:1], -v[24:25]
	v_add_f64_e32 v[91:92], v[6:7], v[8:9]
	v_add_f64_e32 v[93:94], v[20:21], v[4:5]
	ds_load_b64 v[30:31], v156
	ds_load_2addr_b64 v[0:3], v157 offset0:91 offset1:182
	ds_load_2addr_b64 v[20:23], v34 offset0:17 offset1:108
	;; [unrolled: 1-line block ×7, first 2 shown]
	global_wb scope:SCOPE_SE
	s_wait_dscnt 0x0
	s_barrier_signal -1
	s_barrier_wait -1
	global_inv scope:SCOPE_SE
	ds_store_2addr_b64 v86, v[60:61], v[46:47] offset1:13
	ds_store_2addr_b64 v86, v[50:51], v[52:53] offset0:26 offset1:39
	ds_store_2addr_b64 v86, v[54:55], v[56:57] offset0:52 offset1:65
	ds_store_b64 v86, v[64:65] offset:624
	ds_store_2addr_b64 v85, v[62:63], v[66:67] offset1:13
	ds_store_2addr_b64 v85, v[68:69], v[87:88] offset0:26 offset1:39
	ds_store_2addr_b64 v85, v[89:90], v[91:92] offset0:52 offset1:65
	ds_store_b64 v85, v[93:94] offset:624
	s_and_saveexec_b32 s1, s0
	s_cbranch_execz .LBB0_25
; %bb.24:
	v_add_f64_e32 v[46:47], v[70:71], v[80:81]
	v_add_f64_e32 v[50:51], v[72:73], v[78:79]
	;; [unrolled: 1-line block ×3, first 2 shown]
	v_add_f64_e64 v[40:41], v[40:41], -v[76:77]
	v_add_f64_e64 v[36:37], v[36:37], -v[48:49]
	;; [unrolled: 1-line block ×3, first 2 shown]
	s_mov_b32 s2, 0x37e14327
	s_mov_b32 s3, 0x3fe948f6
	;; [unrolled: 1-line block ×8, first 2 shown]
	v_add_f64_e32 v[48:49], v[50:51], v[46:47]
	v_add_f64_e64 v[52:53], v[46:47], -v[44:45]
	v_add_f64_e64 v[54:55], v[44:45], -v[50:51]
	;; [unrolled: 1-line block ×4, first 2 shown]
	v_add_f64_e32 v[40:41], v[36:37], v[40:41]
	v_add_f64_e64 v[36:37], v[32:33], -v[36:37]
	v_add_f64_e64 v[46:47], v[50:51], -v[46:47]
	v_add_f64_e32 v[44:45], v[44:45], v[48:49]
	s_wait_alu 0xfffe
	v_mul_f64_e32 v[48:49], s[2:3], v[52:53]
	s_mov_b32 s2, 0x429ad128
	v_mul_f64_e32 v[52:53], s[12:13], v[56:57]
	s_mov_b32 s3, 0x3febfeb5
	v_mul_f64_e32 v[50:51], s[6:7], v[54:55]
	s_wait_alu 0xfffe
	v_mul_f64_e32 v[56:57], s[2:3], v[58:59]
	s_mov_b32 s12, 0xaaaaaaaa
	s_mov_b32 s13, 0xbff2aaaa
	v_add_f64_e32 v[32:33], v[40:41], v[32:33]
	v_add_f64_e32 v[28:29], v[28:29], v[44:45]
	v_fma_f64 v[40:41], v[54:55], s[6:7], v[48:49]
	v_fma_f64 v[54:55], v[36:37], s[16:17], v[52:53]
	s_mov_b32 s17, 0xbfd5d0dc
	v_fma_f64 v[50:51], v[46:47], s[14:15], -v[50:51]
	s_mov_b32 s15, 0xbfe77f67
	v_fma_f64 v[52:53], v[58:59], s[2:3], -v[52:53]
	s_wait_alu 0xfffe
	v_fma_f64 v[36:37], v[36:37], s[16:17], -v[56:57]
	v_fma_f64 v[46:47], v[46:47], s[14:15], -v[48:49]
	s_mov_b32 s2, 0x37c3f68c
	s_mov_b32 s3, 0x3fdc38aa
	v_fma_f64 v[44:45], v[44:45], s[12:13], v[28:29]
	s_wait_alu 0xfffe
	v_fma_f64 v[48:49], v[32:33], s[2:3], v[54:55]
	v_fma_f64 v[52:53], v[32:33], s[2:3], v[52:53]
	;; [unrolled: 1-line block ×3, first 2 shown]
	s_delay_alu instid0(VALU_DEP_4) | instskip(SKIP_2) | instid1(VALU_DEP_3)
	v_add_f64_e32 v[36:37], v[40:41], v[44:45]
	v_add_f64_e32 v[40:41], v[46:47], v[44:45]
	;; [unrolled: 1-line block ×3, first 2 shown]
	v_add_f64_e64 v[46:47], v[36:37], -v[48:49]
	s_delay_alu instid0(VALU_DEP_3) | instskip(NEXT) | instid1(VALU_DEP_3)
	v_add_f64_e64 v[50:51], v[40:41], -v[32:33]
	v_add_f64_e32 v[54:55], v[52:53], v[44:45]
	v_add_f64_e64 v[44:45], v[44:45], -v[52:53]
	v_add_f64_e32 v[32:33], v[32:33], v[40:41]
	v_add_f64_e32 v[36:37], v[48:49], v[36:37]
	v_add3_u32 v40, 0, v84, v158
	s_delay_alu instid0(VALU_DEP_1)
	v_add_nc_u32_e32 v41, 0x2400, v40
	v_add_nc_u32_e32 v48, 0x2800, v40
	ds_store_2addr_b64 v41, v[28:29], v[46:47] offset0:122 offset1:135
	ds_store_2addr_b64 v48, v[50:51], v[54:55] offset0:20 offset1:33
	;; [unrolled: 1-line block ×3, first 2 shown]
	ds_store_b64 v40, v[36:37] offset:10816
.LBB0_25:
	s_wait_alu 0xfffe
	s_or_b32 exec_lo, exec_lo, s1
	v_mul_u32_u24_e32 v28, 0x6817, v83
	global_wb scope:SCOPE_SE
	s_wait_dscnt 0x0
	s_barrier_signal -1
	s_barrier_wait -1
	global_inv scope:SCOPE_SE
	v_lshrrev_b32_e32 v28, 16, v28
	s_mov_b32 s13, 0xbfee6f0e
	s_mov_b32 s2, 0x4755a5e
	;; [unrolled: 1-line block ×4, first 2 shown]
	v_sub_nc_u16 v29, v82, v28
	s_wait_alu 0xfffe
	s_mov_b32 s6, s2
	s_delay_alu instid0(VALU_DEP_1) | instskip(NEXT) | instid1(VALU_DEP_1)
	v_lshrrev_b16 v29, 1, v29
	v_add_nc_u16 v29, v29, v28
	v_lshlrev_b32_e32 v28, 2, v190
	s_delay_alu instid0(VALU_DEP_2) | instskip(SKIP_1) | instid1(VALU_DEP_2)
	v_lshrrev_b16 v32, 6, v29
	v_mov_b32_e32 v29, 0
	v_mul_lo_u16 v36, 0x5b, v32
	s_delay_alu instid0(VALU_DEP_2) | instskip(NEXT) | instid1(VALU_DEP_2)
	v_lshlrev_b64_e32 v[32:33], 4, v[28:29]
	v_sub_nc_u16 v28, v82, v36
	s_delay_alu instid0(VALU_DEP_2) | instskip(SKIP_1) | instid1(VALU_DEP_3)
	v_add_co_u32 v32, s0, s4, v32
	s_wait_alu 0xf1ff
	v_add_co_ci_u32_e64 v33, s0, s5, v33, s0
	s_delay_alu instid0(VALU_DEP_3)
	v_and_b32_e32 v28, 0xffff, v28
	s_mov_b32 s0, 0x134454ff
	s_clause 0x3
	global_load_b128 v[44:47], v[32:33], off offset:1264
	global_load_b128 v[48:51], v[32:33], off offset:1248
	;; [unrolled: 1-line block ×4, first 2 shown]
	s_mov_b32 s1, 0x3fee6f0e
	v_lshlrev_b32_e32 v32, 6, v28
	s_wait_alu 0xfffe
	s_mov_b32 s12, s0
	v_lshlrev_b32_e32 v28, 3, v28
	s_clause 0x3
	global_load_b128 v[60:63], v32, s[4:5] offset:1248
	global_load_b128 v[64:67], v32, s[4:5] offset:1264
	;; [unrolled: 1-line block ×4, first 2 shown]
	ds_load_2addr_b64 v[76:79], v34 offset0:17 offset1:108
	ds_load_2addr_b64 v[83:86], v38 offset0:71 offset1:162
	;; [unrolled: 1-line block ×6, first 2 shown]
	v_add3_u32 v28, 0, v28, v158
	s_wait_loadcnt_dscnt 0x704
	v_mul_f64_e32 v[36:37], v[85:86], v[46:47]
	s_wait_loadcnt 0x6
	v_mul_f64_e32 v[32:33], v[76:77], v[50:51]
	s_wait_loadcnt_dscnt 0x502
	v_mul_f64_e32 v[80:81], v[93:94], v[54:55]
	s_wait_loadcnt 0x4
	v_mul_f64_e32 v[40:41], v[87:88], v[58:59]
	v_mul_f64_e32 v[103:104], v[78:79], v[50:51]
	s_wait_dscnt 0x1
	v_mul_f64_e32 v[105:106], v[95:96], v[46:47]
	v_mul_f64_e32 v[107:108], v[89:90], v[58:59]
	s_wait_dscnt 0x0
	v_mul_f64_e32 v[109:110], v[99:100], v[54:55]
	s_wait_loadcnt 0x2
	v_mul_f64_e32 v[113:114], v[97:98], v[66:67]
	s_wait_loadcnt 0x1
	v_mul_f64_e32 v[115:116], v[91:92], v[70:71]
	v_mul_f64_e32 v[111:112], v[83:84], v[62:63]
	s_wait_loadcnt 0x0
	v_mul_f64_e32 v[117:118], v[101:102], v[74:75]
	v_mul_f64_e32 v[119:120], v[20:21], v[50:51]
	;; [unrolled: 1-line block ×13, first 2 shown]
	v_fma_f64 v[20:21], v[20:21], v[48:49], -v[32:33]
	v_fma_f64 v[32:33], v[6:7], v[44:45], -v[36:37]
	;; [unrolled: 1-line block ×12, first 2 shown]
	v_fma_f64 v[40:41], v[76:77], v[48:49], v[119:120]
	v_fma_f64 v[76:77], v[85:86], v[44:45], v[121:122]
	;; [unrolled: 1-line block ×12, first 2 shown]
	ds_load_b64 v[60:61], v156
	ds_load_2addr_b64 v[4:7], v157 offset0:91 offset1:182
	global_wb scope:SCOPE_SE
	s_wait_dscnt 0x0
	s_barrier_signal -1
	s_barrier_wait -1
	global_inv scope:SCOPE_SE
	v_add_f64_e32 v[74:75], v[30:31], v[20:21]
	v_add_f64_e64 v[87:88], v[20:21], -v[32:33]
	v_add_f64_e32 v[62:63], v[32:33], v[24:25]
	v_add_f64_e32 v[64:65], v[20:21], v[10:11]
	;; [unrolled: 1-line block ×3, first 2 shown]
	v_add_f64_e64 v[91:92], v[32:33], -v[20:21]
	v_add_f64_e32 v[66:67], v[16:17], v[26:27]
	v_add_f64_e32 v[68:69], v[22:23], v[12:13]
	v_add_f64_e64 v[20:21], v[20:21], -v[10:11]
	v_add_f64_e32 v[70:71], v[18:19], v[8:9]
	v_add_f64_e32 v[113:114], v[2:3], v[36:37]
	;; [unrolled: 1-line block ×4, first 2 shown]
	v_add_f64_e64 v[99:100], v[32:33], -v[24:25]
	v_add_f64_e32 v[97:98], v[76:77], v[85:86]
	v_add_f64_e32 v[101:102], v[40:41], v[80:81]
	v_add_f64_e64 v[78:79], v[40:41], -v[80:81]
	v_add_f64_e32 v[107:108], v[44:45], v[46:47]
	v_add_f64_e64 v[83:84], v[76:77], -v[85:86]
	;; [unrolled: 2-line block ×5, first 2 shown]
	v_add_f64_e32 v[134:135], v[4:5], v[48:49]
	v_add_f64_e32 v[150:151], v[6:7], v[56:57]
	v_add_f64_e64 v[130:131], v[16:17], -v[22:23]
	v_add_f64_e64 v[132:133], v[26:27], -v[12:13]
	;; [unrolled: 1-line block ×11, first 2 shown]
	v_add_f64_e32 v[32:33], v[74:75], v[32:33]
	v_add_f64_e64 v[109:110], v[80:81], -v[85:86]
	v_fma_f64 v[62:63], v[62:63], -0.5, v[30:31]
	v_fma_f64 v[30:31], v[64:65], -0.5, v[30:31]
	v_add_f64_e64 v[64:65], v[22:23], -v[16:17]
	v_add_f64_e64 v[22:23], v[22:23], -v[12:13]
	v_fma_f64 v[66:67], v[66:67], -0.5, v[0:1]
	v_fma_f64 v[0:1], v[68:69], -0.5, v[0:1]
	v_add_f64_e64 v[68:69], v[52:53], -v[54:55]
	v_fma_f64 v[70:71], v[70:71], -0.5, v[2:3]
	v_add_f64_e32 v[16:17], v[105:106], v[16:17]
	v_fma_f64 v[2:3], v[72:73], -0.5, v[2:3]
	v_add_f64_e64 v[72:73], v[12:13], -v[26:27]
	v_add_f64_e64 v[105:106], v[18:19], -v[8:9]
	v_fma_f64 v[74:75], v[97:98], -0.5, v[60:61]
	v_fma_f64 v[60:61], v[101:102], -0.5, v[60:61]
	v_add_f64_e32 v[18:19], v[113:114], v[18:19]
	v_fma_f64 v[101:102], v[107:108], -0.5, v[4:5]
	v_add_f64_e64 v[40:41], v[76:77], -v[40:41]
	v_fma_f64 v[4:5], v[111:112], -0.5, v[4:5]
	v_add_f64_e64 v[138:139], v[48:49], -v[44:45]
	;; [unrolled: 2-line block ×3, first 2 shown]
	v_fma_f64 v[6:7], v[119:120], -0.5, v[6:7]
	v_add_f64_e32 v[76:77], v[95:96], v[76:77]
	v_add_f64_e32 v[44:45], v[134:135], v[44:45]
	v_add_f64_e64 v[117:118], v[85:86], -v[80:81]
	v_add_f64_e64 v[111:112], v[56:57], -v[52:53]
	v_add_f64_e64 v[56:57], v[52:53], -v[56:57]
	v_add_f64_e32 v[52:53], v[150:151], v[52:53]
	v_add_f64_e64 v[140:141], v[50:51], -v[46:47]
	v_add_f64_e64 v[97:98], v[46:47], -v[50:51]
	;; [unrolled: 1-line block ×4, first 2 shown]
	v_add_f64_e32 v[87:88], v[87:88], v[89:90]
	v_add_f64_e32 v[89:90], v[91:92], v[93:94]
	;; [unrolled: 1-line block ×5, first 2 shown]
	v_fma_f64 v[115:116], v[78:79], s[0:1], v[62:63]
	s_wait_alu 0xfffe
	v_fma_f64 v[62:63], v[78:79], s[12:13], v[62:63]
	v_fma_f64 v[119:120], v[83:84], s[12:13], v[30:31]
	;; [unrolled: 1-line block ×15, first 2 shown]
	v_add_f64_e32 v[64:65], v[64:65], v[72:73]
	v_add_f64_e32 v[72:73], v[130:131], v[132:133]
	;; [unrolled: 1-line block ×3, first 2 shown]
	v_fma_f64 v[26:27], v[22:23], s[12:13], v[101:102]
	v_fma_f64 v[130:131], v[136:137], s[0:1], v[4:5]
	;; [unrolled: 1-line block ×4, first 2 shown]
	v_add_f64_e32 v[8:9], v[18:19], v[8:9]
	v_fma_f64 v[18:19], v[36:37], s[12:13], v[107:108]
	v_fma_f64 v[132:133], v[105:106], s[0:1], v[6:7]
	;; [unrolled: 1-line block ×4, first 2 shown]
	v_add_f64_e32 v[76:77], v[76:77], v[85:86]
	v_add_f64_e32 v[44:45], v[44:45], v[46:47]
	;; [unrolled: 1-line block ×7, first 2 shown]
	s_mov_b32 s0, 0x372fe950
	v_add_f64_e32 v[10:11], v[24:25], v[10:11]
	s_mov_b32 s1, 0x3fd3c6ef
	v_fma_f64 v[115:116], v[83:84], s[2:3], v[115:116]
	v_fma_f64 v[62:63], v[83:84], s[6:7], v[62:63]
	;; [unrolled: 1-line block ×12, first 2 shown]
	v_add_f64_e32 v[70:71], v[103:104], v[109:110]
	v_fma_f64 v[24:25], v[99:100], s[6:7], v[32:33]
	v_fma_f64 v[52:53], v[20:21], s[6:7], v[95:96]
	;; [unrolled: 1-line block ×4, first 2 shown]
	v_add_f64_e32 v[103:104], v[138:139], v[140:141]
	v_add_f64_e32 v[12:13], v[16:17], v[12:13]
	v_fma_f64 v[16:17], v[136:137], s[6:7], v[26:27]
	v_fma_f64 v[54:55], v[22:23], s[6:7], v[130:131]
	;; [unrolled: 1-line block ×4, first 2 shown]
	v_add_f64_e32 v[8:9], v[8:9], v[14:15]
	v_fma_f64 v[14:15], v[105:106], s[6:7], v[18:19]
	v_fma_f64 v[22:23], v[36:37], s[6:7], v[132:133]
	;; [unrolled: 1-line block ×4, first 2 shown]
	v_add_f64_e32 v[76:77], v[76:77], v[80:81]
	v_add_f64_e32 v[44:45], v[44:45], v[50:51]
	;; [unrolled: 1-line block ×3, first 2 shown]
	s_wait_alu 0xfffe
	v_fma_f64 v[36:37], v[87:88], s[0:1], v[115:116]
	v_fma_f64 v[60:61], v[87:88], s[0:1], v[62:63]
	;; [unrolled: 1-line block ×12, first 2 shown]
	v_add_nc_u32_e32 v87, 0x400, v157
	v_fma_f64 v[50:51], v[70:71], s[0:1], v[24:25]
	v_fma_f64 v[52:53], v[40:41], s[0:1], v[52:53]
	v_fma_f64 v[40:41], v[40:41], s[0:1], v[20:21]
	v_fma_f64 v[32:33], v[70:71], s[0:1], v[32:33]
	v_add_nc_u32_e32 v88, 0x1400, v157
	v_add_nc_u32_e32 v89, 0x1800, v28
	v_fma_f64 v[58:59], v[103:104], s[0:1], v[16:17]
	v_fma_f64 v[54:55], v[48:49], s[0:1], v[54:55]
	;; [unrolled: 1-line block ×4, first 2 shown]
	v_add_nc_u32_e32 v90, 0x2000, v28
	v_fma_f64 v[80:81], v[97:98], s[0:1], v[14:15]
	v_fma_f64 v[83:84], v[56:57], s[0:1], v[22:23]
	;; [unrolled: 1-line block ×4, first 2 shown]
	ds_store_2addr_b64 v157, v[10:11], v[36:37] offset1:91
	ds_store_2addr_b64 v87, v[62:63], v[30:31] offset0:54 offset1:145
	ds_store_2addr_b64 v34, v[60:61], v[12:13] offset0:108 offset1:199
	;; [unrolled: 1-line block ×6, first 2 shown]
	ds_store_b64 v28, v[68:69] offset:10192
	global_wb scope:SCOPE_SE
	s_wait_dscnt 0x0
	s_barrier_signal -1
	s_barrier_wait -1
	global_inv scope:SCOPE_SE
	ds_load_b64 v[30:31], v156
	ds_load_2addr_b64 v[24:27], v38 offset0:71 offset1:162
	ds_load_2addr_b64 v[8:11], v39 offset0:51 offset1:142
	;; [unrolled: 1-line block ×7, first 2 shown]
	global_wb scope:SCOPE_SE
	s_wait_dscnt 0x0
	s_barrier_signal -1
	s_barrier_wait -1
	global_inv scope:SCOPE_SE
	ds_store_2addr_b64 v157, v[76:77], v[50:51] offset1:91
	ds_store_2addr_b64 v87, v[52:53], v[40:41] offset0:54 offset1:145
	ds_store_2addr_b64 v34, v[32:33], v[44:45] offset0:108 offset1:199
	;; [unrolled: 1-line block ×6, first 2 shown]
	ds_store_b64 v28, v[85:86] offset:10192
	global_wb scope:SCOPE_SE
	s_wait_dscnt 0x0
	s_barrier_signal -1
	s_barrier_wait -1
	global_inv scope:SCOPE_SE
	s_and_saveexec_b32 s0, vcc_lo
	s_cbranch_execz .LBB0_27
; %bb.26:
	v_add_nc_u32_e32 v118, 0x1c7, v190
	v_mad_co_u64_u32 v[103:104], null, s8, v190, 0
	v_mad_co_u64_u32 v[105:106], null, s8, v159, 0
	s_delay_alu instid0(VALU_DEP_3)
	v_mad_co_u64_u32 v[107:108], null, s8, v118, 0
	v_add_nc_u32_e32 v33, 0x111, v190
	v_add_nc_u32_e32 v32, 0x16c, v190
	;; [unrolled: 1-line block ×3, first 2 shown]
	v_mul_hi_u32 v122, 0x20120121, v82
	v_mad_co_u64_u32 v[115:116], null, s9, v190, v[104:105]
	v_mov_b32_e32 v104, v108
	v_mad_co_u64_u32 v[116:117], null, s9, v159, v[106:107]
	v_mad_co_u64_u32 v[111:112], null, s8, v120, 0
	s_delay_alu instid0(VALU_DEP_3) | instskip(SKIP_4) | instid1(VALU_DEP_4)
	v_mad_co_u64_u32 v[117:118], null, s9, v118, v[104:105]
	v_add_nc_u32_e32 v119, 0x38e, v190
	v_mul_hi_u32 v124, 0x20120121, v32
	v_sub_nc_u32_e32 v125, v82, v122
	v_dual_mov_b32 v106, v112 :: v_dual_add_nc_u32 v87, 0x800, v157
	v_mad_co_u64_u32 v[109:110], null, s8, v119, 0
	v_add_nc_u32_e32 v83, 0x2000, v157
	s_delay_alu instid0(VALU_DEP_4)
	v_lshrrev_b32_e32 v112, 1, v125
	v_sub_nc_u32_e32 v125, v32, v124
	v_dual_mov_b32 v104, v115 :: v_dual_add_nc_u32 v95, 0x1c00, v157
	v_lshlrev_b32_e32 v28, 1, v32
	v_mov_b32_e32 v108, v110
	v_add_nc_u32_e32 v78, 0x1800, v157
	v_add_nc_u32_e32 v99, 0xc00, v157
	v_mul_hi_u32 v123, 0x20120121, v33
	v_lshlrev_b64_e32 v[34:35], 4, v[28:29]
	v_mad_co_u64_u32 v[118:119], null, s9, v119, v[108:109]
	v_add_nc_u32_e32 v121, 0x3e9, v190
	v_add_nc_u32_e32 v108, v112, v122
	v_lshrrev_b32_e32 v112, 1, v125
	v_mad_co_u64_u32 v[119:120], null, s9, v120, v[106:107]
	s_delay_alu instid0(VALU_DEP_4)
	v_mad_co_u64_u32 v[113:114], null, s8, v121, 0
	v_add_nc_u32_e32 v91, 0x1000, v157
	v_lshrrev_b32_e32 v115, 8, v108
	v_mov_b32_e32 v108, v117
	v_add_co_u32 v38, vcc_lo, s4, v34
	s_wait_alu 0xfffd
	v_add_co_ci_u32_e32 v39, vcc_lo, s5, v35, vcc_lo
	v_mov_b32_e32 v110, v114
	v_mov_b32_e32 v106, v116
	v_sub_nc_u32_e32 v114, v33, v123
	v_mad_u32_u24 v151, 0x38e, v115, v82
	v_lshlrev_b64_e32 v[103:104], 4, v[103:104]
	v_mad_co_u64_u32 v[120:121], null, s9, v121, v[110:111]
	v_dual_mov_b32 v112, v119 :: v_dual_add_nc_u32 v121, v112, v124
	v_lshrrev_b32_e32 v110, 1, v114
	v_add_nc_u32_e32 v153, 0x1c7, v151
	v_lshlrev_b64_e32 v[105:106], 4, v[105:106]
	s_delay_alu instid0(VALU_DEP_4)
	v_lshrrev_b32_e32 v117, 8, v121
	v_mov_b32_e32 v114, v120
	v_add_nc_u32_e32 v116, v110, v123
	v_mov_b32_e32 v110, v118
	v_lshlrev_b64_e32 v[107:108], 4, v[107:108]
	v_mad_u32_u24 v158, 0x38e, v117, v32
	v_lshlrev_b64_e32 v[111:112], 4, v[111:112]
	v_lshlrev_b64_e32 v[113:114], 4, v[113:114]
	;; [unrolled: 1-line block ×3, first 2 shown]
	s_mov_b32 s0, 0xe8584caa
	v_add_nc_u32_e32 v162, 0x38e, v158
	v_mad_co_u64_u32 v[121:122], null, s8, v158, 0
	s_mov_b32 s1, 0x3febb67a
	s_mov_b32 s3, 0xbfebb67a
	s_delay_alu instid0(VALU_DEP_2) | instskip(SKIP_3) | instid1(VALU_DEP_1)
	v_mad_co_u64_u32 v[149:150], null, s8, v162, 0
	v_lshlrev_b32_e32 v28, 1, v33
	s_wait_alu 0xfffe
	s_mov_b32 s2, s0
	v_lshlrev_b64_e32 v[36:37], 4, v[28:29]
	v_lshlrev_b32_e32 v28, 1, v82
	v_lshrrev_b32_e32 v82, 8, v116
	v_mad_co_u64_u32 v[115:116], null, s8, v151, 0
	s_delay_alu instid0(VALU_DEP_3) | instskip(SKIP_4) | instid1(VALU_DEP_3)
	v_lshlrev_b64_e32 v[50:51], 4, v[28:29]
	v_lshlrev_b32_e32 v28, 1, v159
	v_add_co_u32 v46, vcc_lo, s4, v36
	s_wait_alu 0xfffd
	v_add_co_ci_u32_e32 v47, vcc_lo, s5, v37, vcc_lo
	v_lshlrev_b64_e32 v[52:53], 4, v[28:29]
	v_lshlrev_b32_e32 v28, 1, v190
	v_add_co_u32 v54, vcc_lo, s4, v50
	s_clause 0x3
	global_load_b128 v[34:37], v[38:39], off offset:7088
	global_load_b128 v[38:41], v[38:39], off offset:7072
	global_load_b128 v[42:45], v[46:47], off offset:7088
	global_load_b128 v[46:49], v[46:47], off offset:7072
	v_lshlrev_b64_e32 v[28:29], 4, v[28:29]
	s_wait_alu 0xfffd
	v_add_co_ci_u32_e32 v55, vcc_lo, s5, v51, vcc_lo
	v_add_co_u32 v62, vcc_lo, s4, v52
	s_wait_alu 0xfffd
	v_add_co_ci_u32_e32 v63, vcc_lo, s5, v53, vcc_lo
	v_add_co_u32 v28, vcc_lo, s4, v28
	s_wait_alu 0xfffd
	v_add_co_ci_u32_e32 v29, vcc_lo, s5, v29, vcc_lo
	s_clause 0x5
	global_load_b128 v[50:53], v[54:55], off offset:7072
	global_load_b128 v[54:57], v[54:55], off offset:7088
	;; [unrolled: 1-line block ×6, first 2 shown]
	ds_load_2addr_b64 v[74:77], v157 offset0:91 offset1:182
	ds_load_b64 v[28:29], v156
	ds_load_2addr_b64 v[78:81], v78 offset0:51 offset1:142
	ds_load_2addr_b64 v[83:86], v83 offset0:159 offset1:250
	;; [unrolled: 1-line block ×6, first 2 shown]
	v_add_co_u32 v154, vcc_lo, s10, v128
	s_wait_alu 0xfffd
	v_add_co_ci_u32_e32 v155, vcc_lo, s11, v129, vcc_lo
	v_mad_u32_u24 v157, 0x38e, v82, v33
	v_mov_b32_e32 v82, v116
	v_add_nc_u32_e32 v156, 0x38e, v151
	v_mad_co_u64_u32 v[32:33], null, s8, v153, 0
	s_delay_alu instid0(VALU_DEP_4) | instskip(SKIP_1) | instid1(VALU_DEP_4)
	v_add_nc_u32_e32 v159, 0x1c7, v157
	v_mad_co_u64_u32 v[119:120], null, s8, v157, 0
	v_mad_co_u64_u32 v[117:118], null, s8, v156, 0
	v_add_nc_u32_e32 v160, 0x38e, v157
	s_wait_dscnt 0x4
	v_mad_co_u64_u32 v[151:152], null, s9, v151, v[82:83]
	v_mad_co_u64_u32 v[143:144], null, s8, v159, 0
	s_delay_alu instid0(VALU_DEP_4) | instskip(SKIP_3) | instid1(VALU_DEP_4)
	v_dual_mov_b32 v82, v118 :: v_dual_add_nc_u32 v161, 0x1c7, v158
	v_mov_b32_e32 v116, v120
	v_mad_co_u64_u32 v[145:146], null, s8, v160, 0
	v_mov_b32_e32 v118, v122
	v_mad_co_u64_u32 v[147:148], null, s8, v161, 0
	v_add_co_u32 v103, vcc_lo, v154, v103
	s_wait_alu 0xfffd
	v_add_co_ci_u32_e32 v104, vcc_lo, v155, v104, vcc_lo
	v_add_co_u32 v105, vcc_lo, v154, v105
	s_wait_alu 0xfffd
	v_add_co_ci_u32_e32 v106, vcc_lo, v155, v106, vcc_lo
	;; [unrolled: 3-line block ×6, first 2 shown]
	s_wait_loadcnt 0x9
	v_mul_f64_e32 v[125:126], v[18:19], v[36:37]
	s_wait_loadcnt 0x7
	v_mul_f64_e32 v[129:130], v[16:17], v[44:45]
	v_mul_f64_e32 v[123:124], v[8:9], v[40:41]
	s_wait_loadcnt 0x6
	v_mul_f64_e32 v[127:128], v[14:15], v[48:49]
	s_wait_dscnt 0x2
	v_mul_f64_e32 v[48:49], v[93:94], v[48:49]
	v_mul_f64_e32 v[44:45], v[83:84], v[44:45]
	;; [unrolled: 1-line block ×4, first 2 shown]
	v_mad_co_u64_u32 v[152:153], null, s9, v153, v[33:34]
	s_wait_loadcnt 0x5
	v_mul_f64_e32 v[131:132], v[12:13], v[52:53]
	s_wait_loadcnt 0x3
	v_mul_f64_e32 v[135:136], v[26:27], v[60:61]
	;; [unrolled: 2-line block ×5, first 2 shown]
	s_wait_dscnt 0x0
	v_mul_f64_e32 v[68:69], v[99:100], v[68:69]
	v_mul_f64_e32 v[72:73], v[80:81], v[72:73]
	;; [unrolled: 1-line block ×7, first 2 shown]
	v_mov_b32_e32 v33, v146
	v_fma_f64 v[85:86], v[34:35], v[85:86], v[125:126]
	v_fma_f64 v[83:84], v[42:43], v[83:84], v[129:130]
	;; [unrolled: 1-line block ×4, first 2 shown]
	v_fma_f64 v[14:15], v[14:15], v[46:47], -v[48:49]
	v_fma_f64 v[16:17], v[16:17], v[42:43], -v[44:45]
	;; [unrolled: 1-line block ×4, first 2 shown]
	v_mad_co_u64_u32 v[34:35], null, s9, v157, v[116:117]
	v_fma_f64 v[91:92], v[50:51], v[91:92], v[131:132]
	v_fma_f64 v[101:102], v[58:59], v[101:102], v[135:136]
	;; [unrolled: 1-line block ×5, first 2 shown]
	v_fma_f64 v[24:25], v[24:25], v[66:67], -v[68:69]
	v_fma_f64 v[66:67], v[10:11], v[70:71], -v[72:73]
	;; [unrolled: 1-line block ×4, first 2 shown]
	v_fma_f64 v[97:98], v[54:55], v[97:98], v[133:134]
	v_fma_f64 v[12:13], v[12:13], v[50:51], -v[52:53]
	v_fma_f64 v[22:23], v[22:23], v[54:55], -v[56:57]
	v_mad_co_u64_u32 v[35:36], null, s9, v158, v[118:119]
	v_dual_mov_b32 v36, v148 :: v_dual_mov_b32 v37, v150
	v_mov_b32_e32 v120, v34
	v_mov_b32_e32 v116, v151
	s_delay_alu instid0(VALU_DEP_4) | instskip(NEXT) | instid1(VALU_DEP_3)
	v_mov_b32_e32 v122, v35
	v_lshlrev_b64_e32 v[60:61], 4, v[119:120]
	s_delay_alu instid0(VALU_DEP_2)
	v_lshlrev_b64_e32 v[62:63], 4, v[121:122]
	v_mad_co_u64_u32 v[26:27], null, s9, v156, v[82:83]
	v_mov_b32_e32 v27, v144
	v_add_f64_e32 v[43:44], v[93:94], v[83:84]
	v_add_f64_e32 v[55:56], v[14:15], v[16:17]
	v_add_f64_e64 v[68:69], v[14:15], -v[16:17]
	v_add_f64_e32 v[14:15], v[0:1], v[14:15]
	v_mad_co_u64_u32 v[38:39], null, s9, v159, v[27:28]
	v_mad_co_u64_u32 v[39:40], null, s9, v160, v[33:34]
	v_mov_b32_e32 v118, v26
	v_add_f64_e32 v[26:27], v[78:79], v[85:86]
	v_add_f64_e32 v[47:48], v[101:102], v[95:96]
	;; [unrolled: 1-line block ×4, first 2 shown]
	v_mad_co_u64_u32 v[40:41], null, s9, v161, v[36:37]
	v_add_f64_e32 v[53:54], v[10:11], v[20:21]
	v_mad_co_u64_u32 v[36:37], null, s9, v162, v[37:38]
	v_add_f64_e32 v[45:46], v[91:92], v[97:98]
	v_mov_b32_e32 v144, v38
	v_add_f64_e32 v[37:38], v[12:13], v[22:23]
	v_mov_b32_e32 v146, v39
	v_mov_b32_e32 v148, v40
	v_add_f64_e32 v[39:40], v[8:9], v[18:19]
	v_lshlrev_b64_e32 v[41:42], 4, v[115:116]
	v_add_f64_e32 v[123:124], v[99:100], v[28:29]
	v_add_f64_e32 v[125:126], v[30:31], v[24:25]
	;; [unrolled: 1-line block ×4, first 2 shown]
	v_add_f64_e64 v[24:25], v[24:25], -v[66:67]
	v_add_co_u32 v64, vcc_lo, v154, v41
	s_wait_alu 0xfffd
	v_add_co_ci_u32_e32 v65, vcc_lo, v155, v42, vcc_lo
	v_add_f64_e64 v[41:42], v[8:9], -v[18:19]
	v_add_f64_e32 v[8:9], v[2:3], v[8:9]
	v_add_f64_e64 v[72:73], v[12:13], -v[22:23]
	v_add_f64_e32 v[12:13], v[6:7], v[12:13]
	v_add_f64_e32 v[121:122], v[4:5], v[10:11]
	v_lshlrev_b64_e32 v[51:52], 4, v[117:118]
	v_add_f64_e64 v[117:118], v[10:11], -v[20:21]
	v_add_f64_e64 v[101:102], v[101:102], -v[95:96]
	v_add_f64_e32 v[115:116], v[91:92], v[76:77]
	v_add_f64_e64 v[91:92], v[91:92], -v[97:98]
	v_add_f64_e32 v[70:71], v[93:94], v[87:88]
	v_fma_f64 v[87:88], v[43:44], -0.5, v[87:88]
	v_add_f64_e64 v[93:94], v[93:94], -v[83:84]
	v_fma_f64 v[26:27], v[26:27], -0.5, v[89:90]
	v_fma_f64 v[74:75], v[47:48], -0.5, v[74:75]
	;; [unrolled: 1-line block ×3, first 2 shown]
	v_add_f64_e64 v[48:49], v[99:100], -v[80:81]
	v_fma_f64 v[89:90], v[34:35], -0.5, v[30:31]
	v_fma_f64 v[133:134], v[55:56], -0.5, v[0:1]
	;; [unrolled: 1-line block ×3, first 2 shown]
	v_add_f64_e64 v[78:79], v[78:79], -v[85:86]
	v_mov_b32_e32 v33, v152
	v_fma_f64 v[76:77], v[45:46], -0.5, v[76:77]
	v_add_f64_e32 v[4:5], v[14:15], v[16:17]
	v_fma_f64 v[129:130], v[37:38], -0.5, v[6:7]
	v_mov_b32_e32 v150, v36
	v_lshlrev_b64_e32 v[32:33], 4, v[32:33]
	v_fma_f64 v[135:136], v[39:40], -0.5, v[2:3]
	v_lshlrev_b64_e32 v[99:100], 4, v[143:144]
	v_lshlrev_b64_e32 v[127:128], 4, v[145:146]
	v_add_f64_e32 v[16:17], v[125:126], v[66:67]
	v_add_f64_e32 v[2:3], v[85:86], v[57:58]
	v_add_co_u32 v139, vcc_lo, v154, v32
	s_wait_alu 0xfffd
	v_add_co_ci_u32_e32 v140, vcc_lo, v155, v33, vcc_lo
	v_add_f64_e32 v[14:15], v[95:96], v[119:120]
	v_add_co_u32 v141, vcc_lo, v154, v51
	v_add_f64_e32 v[0:1], v[8:9], v[18:19]
	v_add_f64_e32 v[18:19], v[123:124], v[80:81]
	;; [unrolled: 1-line block ×4, first 2 shown]
	s_wait_alu 0xfffd
	v_add_co_ci_u32_e32 v142, vcc_lo, v155, v52, vcc_lo
	v_add_co_u32 v60, vcc_lo, v154, v60
	v_add_f64_e32 v[10:11], v[97:98], v[115:116]
	v_add_f64_e32 v[6:7], v[83:84], v[70:71]
	s_wait_alu 0xfffe
	v_fma_f64 v[58:59], v[68:69], s[2:3], v[87:88]
	v_fma_f64 v[30:31], v[68:69], s[0:1], v[87:88]
	;; [unrolled: 1-line block ×20, first 2 shown]
	s_wait_alu 0xfffd
	v_add_co_ci_u32_e32 v61, vcc_lo, v155, v61, vcc_lo
	v_add_co_u32 v62, vcc_lo, v154, v62
	s_wait_alu 0xfffd
	v_add_co_ci_u32_e32 v63, vcc_lo, v155, v63, vcc_lo
	v_lshlrev_b64_e32 v[131:132], 4, v[147:148]
	v_add_co_u32 v66, vcc_lo, v154, v99
	s_wait_alu 0xfffd
	v_add_co_ci_u32_e32 v67, vcc_lo, v155, v100, vcc_lo
	v_lshlrev_b64_e32 v[137:138], 4, v[149:150]
	v_add_co_u32 v68, vcc_lo, v154, v127
	s_wait_alu 0xfffd
	v_add_co_ci_u32_e32 v69, vcc_lo, v155, v128, vcc_lo
	v_add_co_u32 v70, vcc_lo, v154, v131
	s_wait_alu 0xfffd
	v_add_co_ci_u32_e32 v71, vcc_lo, v155, v132, vcc_lo
	;; [unrolled: 3-line block ×3, first 2 shown]
	s_clause 0xe
	global_store_b128 v[103:104], v[16:19], off
	global_store_b128 v[107:108], v[44:47], off
	;; [unrolled: 1-line block ×15, first 2 shown]
.LBB0_27:
	s_nop 0
	s_sendmsg sendmsg(MSG_DEALLOC_VGPRS)
	s_endpgm
	.section	.rodata,"a",@progbits
	.p2align	6, 0x0
	.amdhsa_kernel fft_rtc_fwd_len1365_factors_13_7_5_3_wgs_182_tpt_91_halfLds_dp_ip_CI_sbrr_dirReg
		.amdhsa_group_segment_fixed_size 0
		.amdhsa_private_segment_fixed_size 0
		.amdhsa_kernarg_size 88
		.amdhsa_user_sgpr_count 2
		.amdhsa_user_sgpr_dispatch_ptr 0
		.amdhsa_user_sgpr_queue_ptr 0
		.amdhsa_user_sgpr_kernarg_segment_ptr 1
		.amdhsa_user_sgpr_dispatch_id 0
		.amdhsa_user_sgpr_private_segment_size 0
		.amdhsa_wavefront_size32 1
		.amdhsa_uses_dynamic_stack 0
		.amdhsa_enable_private_segment 0
		.amdhsa_system_sgpr_workgroup_id_x 1
		.amdhsa_system_sgpr_workgroup_id_y 0
		.amdhsa_system_sgpr_workgroup_id_z 0
		.amdhsa_system_sgpr_workgroup_info 0
		.amdhsa_system_vgpr_workitem_id 0
		.amdhsa_next_free_vgpr 246
		.amdhsa_next_free_sgpr 46
		.amdhsa_reserve_vcc 1
		.amdhsa_float_round_mode_32 0
		.amdhsa_float_round_mode_16_64 0
		.amdhsa_float_denorm_mode_32 3
		.amdhsa_float_denorm_mode_16_64 3
		.amdhsa_fp16_overflow 0
		.amdhsa_workgroup_processor_mode 1
		.amdhsa_memory_ordered 1
		.amdhsa_forward_progress 0
		.amdhsa_round_robin_scheduling 0
		.amdhsa_exception_fp_ieee_invalid_op 0
		.amdhsa_exception_fp_denorm_src 0
		.amdhsa_exception_fp_ieee_div_zero 0
		.amdhsa_exception_fp_ieee_overflow 0
		.amdhsa_exception_fp_ieee_underflow 0
		.amdhsa_exception_fp_ieee_inexact 0
		.amdhsa_exception_int_div_zero 0
	.end_amdhsa_kernel
	.text
.Lfunc_end0:
	.size	fft_rtc_fwd_len1365_factors_13_7_5_3_wgs_182_tpt_91_halfLds_dp_ip_CI_sbrr_dirReg, .Lfunc_end0-fft_rtc_fwd_len1365_factors_13_7_5_3_wgs_182_tpt_91_halfLds_dp_ip_CI_sbrr_dirReg
                                        ; -- End function
	.section	.AMDGPU.csdata,"",@progbits
; Kernel info:
; codeLenInByte = 17460
; NumSgprs: 48
; NumVgprs: 246
; ScratchSize: 0
; MemoryBound: 1
; FloatMode: 240
; IeeeMode: 1
; LDSByteSize: 0 bytes/workgroup (compile time only)
; SGPRBlocks: 5
; VGPRBlocks: 30
; NumSGPRsForWavesPerEU: 48
; NumVGPRsForWavesPerEU: 246
; Occupancy: 5
; WaveLimiterHint : 1
; COMPUTE_PGM_RSRC2:SCRATCH_EN: 0
; COMPUTE_PGM_RSRC2:USER_SGPR: 2
; COMPUTE_PGM_RSRC2:TRAP_HANDLER: 0
; COMPUTE_PGM_RSRC2:TGID_X_EN: 1
; COMPUTE_PGM_RSRC2:TGID_Y_EN: 0
; COMPUTE_PGM_RSRC2:TGID_Z_EN: 0
; COMPUTE_PGM_RSRC2:TIDIG_COMP_CNT: 0
	.text
	.p2alignl 7, 3214868480
	.fill 96, 4, 3214868480
	.type	__hip_cuid_a7a969cf098faf9f,@object ; @__hip_cuid_a7a969cf098faf9f
	.section	.bss,"aw",@nobits
	.globl	__hip_cuid_a7a969cf098faf9f
__hip_cuid_a7a969cf098faf9f:
	.byte	0                               ; 0x0
	.size	__hip_cuid_a7a969cf098faf9f, 1

	.ident	"AMD clang version 19.0.0git (https://github.com/RadeonOpenCompute/llvm-project roc-6.4.0 25133 c7fe45cf4b819c5991fe208aaa96edf142730f1d)"
	.section	".note.GNU-stack","",@progbits
	.addrsig
	.addrsig_sym __hip_cuid_a7a969cf098faf9f
	.amdgpu_metadata
---
amdhsa.kernels:
  - .args:
      - .actual_access:  read_only
        .address_space:  global
        .offset:         0
        .size:           8
        .value_kind:     global_buffer
      - .offset:         8
        .size:           8
        .value_kind:     by_value
      - .actual_access:  read_only
        .address_space:  global
        .offset:         16
        .size:           8
        .value_kind:     global_buffer
      - .actual_access:  read_only
        .address_space:  global
        .offset:         24
        .size:           8
        .value_kind:     global_buffer
      - .offset:         32
        .size:           8
        .value_kind:     by_value
      - .actual_access:  read_only
        .address_space:  global
        .offset:         40
        .size:           8
        .value_kind:     global_buffer
      - .actual_access:  read_only
        .address_space:  global
        .offset:         48
        .size:           8
        .value_kind:     global_buffer
      - .offset:         56
        .size:           4
        .value_kind:     by_value
      - .actual_access:  read_only
        .address_space:  global
        .offset:         64
        .size:           8
        .value_kind:     global_buffer
      - .actual_access:  read_only
        .address_space:  global
        .offset:         72
        .size:           8
        .value_kind:     global_buffer
      - .address_space:  global
        .offset:         80
        .size:           8
        .value_kind:     global_buffer
    .group_segment_fixed_size: 0
    .kernarg_segment_align: 8
    .kernarg_segment_size: 88
    .language:       OpenCL C
    .language_version:
      - 2
      - 0
    .max_flat_workgroup_size: 182
    .name:           fft_rtc_fwd_len1365_factors_13_7_5_3_wgs_182_tpt_91_halfLds_dp_ip_CI_sbrr_dirReg
    .private_segment_fixed_size: 0
    .sgpr_count:     48
    .sgpr_spill_count: 0
    .symbol:         fft_rtc_fwd_len1365_factors_13_7_5_3_wgs_182_tpt_91_halfLds_dp_ip_CI_sbrr_dirReg.kd
    .uniform_work_group_size: 1
    .uses_dynamic_stack: false
    .vgpr_count:     246
    .vgpr_spill_count: 0
    .wavefront_size: 32
    .workgroup_processor_mode: 1
amdhsa.target:   amdgcn-amd-amdhsa--gfx1201
amdhsa.version:
  - 1
  - 2
...

	.end_amdgpu_metadata
